;; amdgpu-corpus repo=zjin-lcf/HeCBench kind=compiled arch=gfx1100 opt=O3
	.text
	.amdgcn_target "amdgcn-amd-amdhsa--gfx1100"
	.amdhsa_code_object_version 6
	.section	.text._Z46moe_align_block_size_small_batch_expert_kernelIiLi256EEvPKT_PiS3_S3_S3_iiiii,"axG",@progbits,_Z46moe_align_block_size_small_batch_expert_kernelIiLi256EEvPKT_PiS3_S3_S3_iiiii,comdat
	.protected	_Z46moe_align_block_size_small_batch_expert_kernelIiLi256EEvPKT_PiS3_S3_S3_iiiii ; -- Begin function _Z46moe_align_block_size_small_batch_expert_kernelIiLi256EEvPKT_PiS3_S3_S3_iiiii
	.globl	_Z46moe_align_block_size_small_batch_expert_kernelIiLi256EEvPKT_PiS3_S3_S3_iiiii
	.p2align	8
	.type	_Z46moe_align_block_size_small_batch_expert_kernelIiLi256EEvPKT_PiS3_S3_S3_iiiii,@function
_Z46moe_align_block_size_small_batch_expert_kernelIiLi256EEvPKT_PiS3_S3_S3_iiiii: ; @_Z46moe_align_block_size_small_batch_expert_kernelIiLi256EEvPKT_PiS3_S3_S3_iiiii
; %bb.0:
	s_clause 0x1
	s_load_b128 s[4:7], s[0:1], 0x28
	s_load_b64 s[12:13], s[0:1], 0x8
	s_mov_b32 s2, exec_lo
	s_waitcnt lgkmcnt(0)
	s_abs_i32 s21, s5
	s_delay_alu instid0(SALU_CYCLE_1) | instskip(NEXT) | instid1(VALU_DEP_1)
	v_cvt_f32_u32_e32 v1, s21
	v_rcp_iflag_f32_e32 v1, v1
	s_waitcnt_depctr 0xfff
	v_mul_f32_e32 v1, 0x4f7ffffe, v1
	s_delay_alu instid0(VALU_DEP_1) | instskip(NEXT) | instid1(VALU_DEP_1)
	v_cvt_u32_f32_e32 v1, v1
	v_readfirstlane_b32 s22, v1
	v_cmpx_lt_u32_e32 0xff, v0
	s_xor_b32 s3, exec_lo, s2
	s_cbranch_execz .LBB0_53
; %bb.1:
	s_clause 0x2
	s_load_b64 s[16:17], s[0:1], 0x0
	s_load_b64 s[14:15], s[0:1], 0x20
	s_load_b32 s18, s[0:1], 0x4c
	s_sub_i32 s2, 0, s21
	s_add_i32 s25, s5, -1
	s_mul_i32 s8, s2, s22
	s_add_i32 s2, s25, s7
	s_mul_hi_u32 s8, s22, s8
	s_lshl_b32 s28, s4, 2
	v_add_nc_u32_e32 v1, 0xffffff01, v0
	s_abs_i32 s23, s2
	s_add_i32 s22, s22, s8
	s_add_i32 s19, s28, 0
	s_cmp_lt_i32 s4, 1
	s_cbranch_scc1 .LBB0_4
; %bb.2:
	v_mul_lo_u32 v2, v1, s4
	s_mov_b32 s8, s4
	s_delay_alu instid0(VALU_DEP_1) | instskip(NEXT) | instid1(VALU_DEP_1)
	v_dual_mov_b32 v3, 0 :: v_dual_lshlrev_b32 v2, 2, v2
	v_add3_u32 v2, s19, v2, 4
.LBB0_3:                                ; =>This Inner Loop Header: Depth=1
	ds_store_b32 v2, v3
	v_add_nc_u32_e32 v2, 4, v2
	s_add_i32 s8, s8, -1
	s_delay_alu instid0(SALU_CYCLE_1)
	s_cmp_eq_u32 s8, 0
	s_cbranch_scc0 .LBB0_3
.LBB0_4:
	s_load_b128 s[8:11], s[0:1], 0x10
	v_add_nc_u32_e32 v5, 0xffffff00, v0
	s_waitcnt lgkmcnt(0)
	s_and_b32 s20, 0xffff, s18
	s_mul_hi_u32 s24, s23, s22
	s_add_i32 s18, s20, 0xffffff00
	v_cmp_gt_i32_e64 s0, s6, v5
	s_delay_alu instid0(VALU_DEP_1)
	s_and_saveexec_b32 s26, s0
	s_cbranch_execz .LBB0_11
; %bb.5:
	v_mul_lo_u32 v1, v1, s4
	v_dual_mov_b32 v7, v5 :: v_dual_lshlrev_b32 v2, 2, v0
	s_cmp_eq_u64 s[14:15], 0
	s_mov_b32 s30, 0
	s_cselect_b32 s27, -1, 0
	s_delay_alu instid0(VALU_DEP_1) | instskip(NEXT) | instid1(VALU_DEP_3)
	v_add_co_u32 v2, s1, v2, s16
	v_lshlrev_b32_e32 v1, 2, v1
	v_add_co_ci_u32_e64 v3, null, 0, s17, s1
	s_cmp_lg_u64 s[14:15], 0
	s_cselect_b32 s29, -1, 0
	s_delay_alu instid0(VALU_DEP_2) | instskip(SKIP_3) | instid1(SALU_CYCLE_1)
	v_add3_u32 v6, s19, v1, 4
	v_add_co_u32 v1, vcc_lo, 0xfffffc00, v2
	v_add_co_ci_u32_e32 v2, vcc_lo, -1, v3, vcc_lo
	s_lshl_b32 s1, s20, 2
	s_add_u32 s31, s1, 0xfffffc00
	s_addc_u32 s33, 0, -1
	s_set_inst_prefetch_distance 0x1
	s_branch .LBB0_8
	.p2align	6
.LBB0_6:                                ;   in Loop: Header=BB0_8 Depth=1
	s_waitcnt vmcnt(0)
	v_lshl_add_u32 v3, v3, 2, v6
	ds_load_b32 v4, v3
	s_waitcnt lgkmcnt(0)
	v_add_nc_u32_e32 v4, 1, v4
	ds_store_b32 v3, v4
.LBB0_7:                                ;   in Loop: Header=BB0_8 Depth=1
	s_or_b32 exec_lo, exec_lo, s1
	v_add_nc_u32_e32 v7, s18, v7
	v_add_co_u32 v1, s1, v1, s31
	s_delay_alu instid0(VALU_DEP_1) | instskip(NEXT) | instid1(VALU_DEP_3)
	v_add_co_ci_u32_e64 v2, s1, s33, v2, s1
	v_cmp_le_i32_e32 vcc_lo, s6, v7
	s_or_b32 s30, vcc_lo, s30
	s_delay_alu instid0(SALU_CYCLE_1)
	s_and_not1_b32 exec_lo, exec_lo, s30
	s_cbranch_execz .LBB0_11
.LBB0_8:                                ; =>This Inner Loop Header: Depth=1
	global_load_b32 v3, v[1:2], off
	s_and_not1_b32 vcc_lo, exec_lo, s29
	s_cbranch_vccnz .LBB0_10
; %bb.9:                                ;   in Loop: Header=BB0_8 Depth=1
	s_waitcnt vmcnt(0)
	v_ashrrev_i32_e32 v4, 31, v3
	s_and_not1_b32 s1, s27, exec_lo
	s_delay_alu instid0(VALU_DEP_1) | instskip(NEXT) | instid1(VALU_DEP_1)
	v_lshlrev_b64 v[3:4], 2, v[3:4]
	v_add_co_u32 v3, vcc_lo, s14, v3
	s_delay_alu instid0(VALU_DEP_2) | instskip(SKIP_4) | instid1(SALU_CYCLE_1)
	v_add_co_ci_u32_e32 v4, vcc_lo, s15, v4, vcc_lo
	global_load_b32 v3, v[3:4], off
	s_waitcnt vmcnt(0)
	v_cmp_ne_u32_e32 vcc_lo, -1, v3
	s_and_b32 s34, vcc_lo, exec_lo
	s_or_b32 s34, s1, s34
	s_delay_alu instid0(SALU_CYCLE_1)
	s_and_saveexec_b32 s1, s34
	s_cbranch_execz .LBB0_7
	s_branch .LBB0_6
	.p2align	6
.LBB0_10:                               ;   in Loop: Header=BB0_8 Depth=1
	s_mov_b32 s34, s27
	s_delay_alu instid0(SALU_CYCLE_1)
	s_and_saveexec_b32 s1, s34
	s_cbranch_execz .LBB0_7
	s_branch .LBB0_6
.LBB0_11:
	s_set_inst_prefetch_distance 0x2
	s_or_b32 exec_lo, exec_lo, s26
	v_cmp_gt_i32_e64 s1, s4, v5
	s_ashr_i32 s27, s2, 31
	s_ashr_i32 s26, s5, 31
	s_waitcnt vmcnt(0) lgkmcnt(0)
	s_barrier
	buffer_gl0_inv
	s_and_saveexec_b32 s29, s1
	s_cbranch_execz .LBB0_19
; %bb.12:
	v_lshl_add_u32 v1, v5, 2, s19
	v_mov_b32_e32 v2, 0
	s_cmpk_lt_u32 s20, 0x101
	ds_store_b32 v1, v2 offset:4
	s_cbranch_scc1 .LBB0_19
; %bb.13:
	v_lshlrev_b32_e32 v1, 2, v0
	s_cmp_eq_u32 s4, 1
	s_cselect_b32 s30, -1, 0
	s_add_i32 s2, s20, 0xfffffeff
	s_delay_alu instid0(VALU_DEP_1) | instskip(SKIP_2) | instid1(VALU_DEP_1)
	v_add_nc_u32_e32 v3, 0, v1
	s_lshl_b32 s31, s2, 2
	s_cmp_lt_u32 s2, 2.0
	v_add_nc_u32_e32 v2, 0xfffffc08, v3
	v_add_nc_u32_e32 v3, 0xfffffc0c, v3
	s_delay_alu instid0(VALU_DEP_2) | instskip(NEXT) | instid1(VALU_DEP_2)
	v_add_nc_u32_e32 v4, s31, v2
	v_add_nc_u32_e32 v6, s31, v3
	s_cselect_b32 s31, -1, 0
	s_delay_alu instid0(VALU_DEP_2) | instskip(NEXT) | instid1(VALU_DEP_2)
	v_cmp_ge_u32_e32 vcc_lo, v4, v2
	v_cmp_ge_u32_e64 s2, v6, v3
	s_and_b32 s31, vcc_lo, s31
	s_delay_alu instid0(SALU_CYCLE_1)
	s_and_b32 s30, s30, s31
	s_delay_alu instid0(VALU_DEP_1) | instid1(SALU_CYCLE_1)
	s_and_b32 s2, s2, s30
	s_delay_alu instid0(SALU_CYCLE_1) | instskip(NEXT) | instid1(SALU_CYCLE_1)
	s_and_saveexec_b32 s30, s2
	s_xor_b32 s2, exec_lo, s30
	s_cbranch_execz .LBB0_16
; %bb.14:
	ds_load_b32 v2, v2
	v_add3_u32 v3, v1, 0, 0xfffffc0c
	s_mov_b32 s30, s18
.LBB0_15:                               ; =>This Inner Loop Header: Depth=1
	ds_load_b32 v1, v3
	s_add_i32 s30, s30, -1
	s_delay_alu instid0(SALU_CYCLE_1)
	s_cmp_lg_u32 s30, 0
	s_waitcnt lgkmcnt(0)
	v_add_nc_u32_e32 v2, v1, v2
                                        ; implicit-def: $vgpr1
	ds_store_b32 v3, v2
	v_add_nc_u32_e32 v3, 4, v3
	s_cbranch_scc1 .LBB0_15
.LBB0_16:
	s_and_not1_saveexec_b32 s2, s2
	s_cbranch_execz .LBB0_19
; %bb.17:
	v_add3_u32 v1, v1, 0, 0xfffffc04
	s_lshl_b32 s2, s4, 3
	s_mov_b32 s30, s18
.LBB0_18:                               ; =>This Inner Loop Header: Depth=1
	s_delay_alu instid0(VALU_DEP_1)
	v_add_nc_u32_e32 v2, s28, v1
	v_add_nc_u32_e32 v3, s2, v1
	s_add_i32 s30, s30, -1
	ds_load_b32 v1, v2
	ds_load_b32 v4, v3
	s_cmp_eq_u32 s30, 0
	s_waitcnt lgkmcnt(0)
	v_dual_mov_b32 v1, v2 :: v_dual_add_nc_u32 v4, v4, v1
	ds_store_b32 v3, v4
	s_cbranch_scc0 .LBB0_18
.LBB0_19:
	s_or_b32 exec_lo, exec_lo, s29
	s_delay_alu instid0(SALU_CYCLE_1)
	s_mov_b32 s2, exec_lo
	s_waitcnt lgkmcnt(0)
	s_barrier
	buffer_gl0_inv
	v_cmpx_eq_u32_e32 0, v5
	s_cbranch_execz .LBB0_39
; %bb.20:
	v_mov_b32_e32 v1, 0
	s_cmp_lt_i32 s4, 1
	ds_store_b32 v1, v1
	s_cbranch_scc1 .LBB0_38
; %bb.21:
	s_mul_i32 s28, s18, s4
	s_add_i32 s29, s4, -1
	s_lshl_b32 s28, s28, 2
	s_lshl_b32 s30, s29, 2
	s_add_i32 s28, s19, s28
	s_delay_alu instid0(SALU_CYCLE_1) | instskip(NEXT) | instid1(SALU_CYCLE_1)
	s_add_i32 s28, s28, 4
	s_add_i32 s31, s28, s30
	s_delay_alu instid0(SALU_CYCLE_1)
	s_cmp_ge_u32 s31, s28
	s_cselect_b32 s31, -1, 0
	s_cmp_lt_u32 s29, 2.0
	s_cselect_b32 s29, -1, 0
	s_add_i32 s30, s30, 0
	s_add_i32 s28, 0, 4
	;; [unrolled: 1-line block ×3, first 2 shown]
	s_delay_alu instid0(SALU_CYCLE_1) | instskip(SKIP_1) | instid1(SALU_CYCLE_1)
	s_cmp_ge_u32 s33, s28
	s_cselect_b32 s33, -1, 0
	s_and_b32 s31, s33, s31
	s_cmp_ge_u32 s30, 0
	s_cselect_b32 s30, -1, 0
	s_and_b32 s29, s31, s29
	s_delay_alu instid0(SALU_CYCLE_1) | instskip(NEXT) | instid1(SALU_CYCLE_1)
	s_and_b32 s29, s30, s29
	s_and_b32 vcc_lo, exec_lo, s29
	s_mov_b32 s29, -1
	s_cbranch_vccz .LBB0_30
; %bb.22:
	s_cmp_lt_u32 s4, 8
	s_cbranch_scc1 .LBB0_26
; %bb.23:
	s_lshl_b32 s30, s20, 2
	s_and_b32 s29, s4, 0x7ffffff8
	s_addk_i32 s30, 0xfc04
	s_mov_b32 s33, 0
	s_mul_i32 s30, s4, s30
	s_mov_b32 s31, 0
.LBB0_24:                               ; =>This Inner Loop Header: Depth=1
	s_add_i32 s34, s28, s30
	s_delay_alu instid0(SALU_CYCLE_1) | instskip(SKIP_4) | instid1(VALU_DEP_2)
	v_mov_b32_e32 v2, s34
	ds_load_b32 v3, v2
	s_waitcnt lgkmcnt(0)
	v_readfirstlane_b32 s34, v3
	v_mov_b32_e32 v3, s28
	s_add_i32 s34, s25, s34
	s_delay_alu instid0(SALU_CYCLE_1) | instskip(NEXT) | instid1(SALU_CYCLE_1)
	s_abs_i32 s35, s34
	s_mul_hi_u32 s36, s35, s22
	s_delay_alu instid0(SALU_CYCLE_1) | instskip(NEXT) | instid1(SALU_CYCLE_1)
	s_mul_i32 s36, s36, s21
	s_sub_i32 s35, s35, s36
	s_ashr_i32 s36, s34, 31
	s_sub_i32 s37, s35, s21
	s_cmp_ge_u32 s35, s21
	s_cselect_b32 s35, s37, s35
	s_delay_alu instid0(SALU_CYCLE_1) | instskip(SKIP_2) | instid1(SALU_CYCLE_1)
	s_sub_i32 s37, s35, s21
	s_cmp_ge_u32 s35, s21
	s_cselect_b32 s35, s37, s35
	s_xor_b32 s35, s35, s36
	s_delay_alu instid0(SALU_CYCLE_1) | instskip(NEXT) | instid1(SALU_CYCLE_1)
	s_sub_i32 s35, s36, s35
	s_add_i32 s33, s33, s35
	s_delay_alu instid0(SALU_CYCLE_1) | instskip(NEXT) | instid1(SALU_CYCLE_1)
	s_add_i32 s33, s33, s34
	v_mov_b32_e32 v4, s33
	ds_store_b32 v3, v4
	ds_load_b32 v4, v2 offset:4
	s_waitcnt lgkmcnt(0)
	v_readfirstlane_b32 s34, v4
	s_delay_alu instid0(VALU_DEP_1) | instskip(NEXT) | instid1(SALU_CYCLE_1)
	s_add_i32 s34, s25, s34
	s_abs_i32 s35, s34
	s_delay_alu instid0(SALU_CYCLE_1) | instskip(NEXT) | instid1(SALU_CYCLE_1)
	s_mul_hi_u32 s36, s35, s22
	s_mul_i32 s36, s36, s21
	s_delay_alu instid0(SALU_CYCLE_1) | instskip(SKIP_4) | instid1(SALU_CYCLE_1)
	s_sub_i32 s35, s35, s36
	s_ashr_i32 s36, s34, 31
	s_sub_i32 s37, s35, s21
	s_cmp_ge_u32 s35, s21
	s_cselect_b32 s35, s37, s35
	s_sub_i32 s37, s35, s21
	s_cmp_ge_u32 s35, s21
	s_cselect_b32 s35, s37, s35
	s_delay_alu instid0(SALU_CYCLE_1) | instskip(NEXT) | instid1(SALU_CYCLE_1)
	s_xor_b32 s35, s35, s36
	s_sub_i32 s35, s36, s35
	s_delay_alu instid0(SALU_CYCLE_1) | instskip(NEXT) | instid1(SALU_CYCLE_1)
	s_add_i32 s33, s33, s35
	s_add_i32 s33, s33, s34
	s_delay_alu instid0(SALU_CYCLE_1) | instskip(SKIP_4) | instid1(VALU_DEP_1)
	v_mov_b32_e32 v4, s33
	ds_store_b32 v3, v4 offset:4
	ds_load_b32 v4, v2 offset:8
	s_waitcnt lgkmcnt(0)
	v_readfirstlane_b32 s34, v4
	s_add_i32 s34, s25, s34
	s_delay_alu instid0(SALU_CYCLE_1) | instskip(NEXT) | instid1(SALU_CYCLE_1)
	s_abs_i32 s35, s34
	s_mul_hi_u32 s36, s35, s22
	s_delay_alu instid0(SALU_CYCLE_1) | instskip(NEXT) | instid1(SALU_CYCLE_1)
	s_mul_i32 s36, s36, s21
	s_sub_i32 s35, s35, s36
	s_ashr_i32 s36, s34, 31
	s_sub_i32 s37, s35, s21
	s_cmp_ge_u32 s35, s21
	s_cselect_b32 s35, s37, s35
	s_delay_alu instid0(SALU_CYCLE_1) | instskip(SKIP_2) | instid1(SALU_CYCLE_1)
	s_sub_i32 s37, s35, s21
	s_cmp_ge_u32 s35, s21
	s_cselect_b32 s35, s37, s35
	s_xor_b32 s35, s35, s36
	s_delay_alu instid0(SALU_CYCLE_1) | instskip(NEXT) | instid1(SALU_CYCLE_1)
	s_sub_i32 s35, s36, s35
	s_add_i32 s33, s33, s35
	s_delay_alu instid0(SALU_CYCLE_1) | instskip(NEXT) | instid1(SALU_CYCLE_1)
	s_add_i32 s33, s33, s34
	v_mov_b32_e32 v4, s33
	ds_store_b32 v3, v4 offset:8
	ds_load_b32 v4, v2 offset:12
	s_waitcnt lgkmcnt(0)
	v_readfirstlane_b32 s34, v4
	s_delay_alu instid0(VALU_DEP_1) | instskip(NEXT) | instid1(SALU_CYCLE_1)
	s_add_i32 s34, s25, s34
	s_abs_i32 s35, s34
	s_delay_alu instid0(SALU_CYCLE_1) | instskip(NEXT) | instid1(SALU_CYCLE_1)
	s_mul_hi_u32 s36, s35, s22
	s_mul_i32 s36, s36, s21
	s_delay_alu instid0(SALU_CYCLE_1) | instskip(SKIP_4) | instid1(SALU_CYCLE_1)
	s_sub_i32 s35, s35, s36
	s_ashr_i32 s36, s34, 31
	s_sub_i32 s37, s35, s21
	s_cmp_ge_u32 s35, s21
	s_cselect_b32 s35, s37, s35
	s_sub_i32 s37, s35, s21
	s_cmp_ge_u32 s35, s21
	s_cselect_b32 s35, s37, s35
	s_delay_alu instid0(SALU_CYCLE_1) | instskip(NEXT) | instid1(SALU_CYCLE_1)
	s_xor_b32 s35, s35, s36
	s_sub_i32 s35, s36, s35
	s_delay_alu instid0(SALU_CYCLE_1) | instskip(NEXT) | instid1(SALU_CYCLE_1)
	s_add_i32 s33, s33, s35
	s_add_i32 s33, s33, s34
	s_delay_alu instid0(SALU_CYCLE_1) | instskip(SKIP_4) | instid1(VALU_DEP_1)
	v_mov_b32_e32 v4, s33
	ds_store_b32 v3, v4 offset:12
	ds_load_b32 v4, v2 offset:16
	s_waitcnt lgkmcnt(0)
	v_readfirstlane_b32 s34, v4
	s_add_i32 s34, s25, s34
	s_delay_alu instid0(SALU_CYCLE_1) | instskip(NEXT) | instid1(SALU_CYCLE_1)
	s_abs_i32 s35, s34
	s_mul_hi_u32 s36, s35, s22
	s_delay_alu instid0(SALU_CYCLE_1) | instskip(NEXT) | instid1(SALU_CYCLE_1)
	s_mul_i32 s36, s36, s21
	s_sub_i32 s35, s35, s36
	s_ashr_i32 s36, s34, 31
	s_sub_i32 s37, s35, s21
	s_cmp_ge_u32 s35, s21
	s_cselect_b32 s35, s37, s35
	s_delay_alu instid0(SALU_CYCLE_1) | instskip(SKIP_2) | instid1(SALU_CYCLE_1)
	s_sub_i32 s37, s35, s21
	s_cmp_ge_u32 s35, s21
	s_cselect_b32 s35, s37, s35
	s_xor_b32 s35, s35, s36
	s_delay_alu instid0(SALU_CYCLE_1) | instskip(NEXT) | instid1(SALU_CYCLE_1)
	s_sub_i32 s35, s36, s35
	s_add_i32 s33, s33, s35
	s_delay_alu instid0(SALU_CYCLE_1) | instskip(NEXT) | instid1(SALU_CYCLE_1)
	s_add_i32 s33, s33, s34
	v_mov_b32_e32 v4, s33
	ds_store_b32 v3, v4 offset:16
	;; [unrolled: 53-line block ×3, first 2 shown]
	ds_load_b32 v2, v2 offset:28
	s_waitcnt lgkmcnt(0)
	v_readfirstlane_b32 s34, v2
	s_delay_alu instid0(VALU_DEP_1) | instskip(NEXT) | instid1(SALU_CYCLE_1)
	s_add_i32 s34, s25, s34
	s_abs_i32 s35, s34
	s_delay_alu instid0(SALU_CYCLE_1) | instskip(NEXT) | instid1(SALU_CYCLE_1)
	s_mul_hi_u32 s36, s35, s22
	s_mul_i32 s36, s36, s21
	s_delay_alu instid0(SALU_CYCLE_1) | instskip(SKIP_4) | instid1(SALU_CYCLE_1)
	s_sub_i32 s35, s35, s36
	s_ashr_i32 s36, s34, 31
	s_sub_i32 s37, s35, s21
	s_cmp_ge_u32 s35, s21
	s_cselect_b32 s35, s37, s35
	s_sub_i32 s37, s35, s21
	s_cmp_ge_u32 s35, s21
	s_cselect_b32 s35, s37, s35
	s_add_i32 s28, s28, 32
	s_xor_b32 s35, s35, s36
	s_delay_alu instid0(SALU_CYCLE_1) | instskip(NEXT) | instid1(SALU_CYCLE_1)
	s_sub_i32 s35, s36, s35
	s_add_i32 s33, s33, s35
	s_delay_alu instid0(SALU_CYCLE_1) | instskip(SKIP_3) | instid1(SALU_CYCLE_1)
	s_add_i32 s33, s33, s34
	s_mov_b32 s34, s31
	v_mov_b32_e32 v2, s33
	s_add_i32 s31, s31, 8
	s_cmp_eq_u32 s29, s31
	ds_store_b32 v3, v2 offset:28
	s_cbranch_scc0 .LBB0_24
; %bb.25:
	s_add_i32 s30, s34, 9
	s_branch .LBB0_27
.LBB0_26:
	s_mov_b32 s33, 0
	s_mov_b32 s30, 1
.LBB0_27:
	s_and_b32 s28, s4, 7
	s_mov_b32 s29, 0
	s_cmp_eq_u32 s28, 0
	s_cbranch_scc1 .LBB0_30
; %bb.28:
	s_lshl_b32 s31, s20, 2
	s_lshl_b32 s34, s30, 2
	s_addk_i32 s31, 0xfc04
	s_delay_alu instid0(SALU_CYCLE_1)
	s_mul_i32 s30, s4, s31
	s_add_i32 s31, s34, 0
	.p2align	6
.LBB0_29:                               ; =>This Inner Loop Header: Depth=1
	s_delay_alu instid0(SALU_CYCLE_1) | instskip(NEXT) | instid1(SALU_CYCLE_1)
	s_add_i32 s34, s31, s30
	v_mov_b32_e32 v2, s34
	ds_load_b32 v2, v2
	s_waitcnt lgkmcnt(0)
	v_readfirstlane_b32 s34, v2
	v_mov_b32_e32 v2, s31
	s_delay_alu instid0(VALU_DEP_2) | instskip(NEXT) | instid1(SALU_CYCLE_1)
	s_add_i32 s34, s25, s34
	s_abs_i32 s35, s34
	s_delay_alu instid0(SALU_CYCLE_1) | instskip(NEXT) | instid1(SALU_CYCLE_1)
	s_mul_hi_u32 s36, s35, s22
	s_mul_i32 s36, s36, s21
	s_delay_alu instid0(SALU_CYCLE_1) | instskip(SKIP_4) | instid1(SALU_CYCLE_1)
	s_sub_i32 s35, s35, s36
	s_ashr_i32 s36, s34, 31
	s_sub_i32 s37, s35, s21
	s_cmp_ge_u32 s35, s21
	s_cselect_b32 s35, s37, s35
	s_sub_i32 s37, s35, s21
	s_cmp_ge_u32 s35, s21
	s_cselect_b32 s35, s37, s35
	s_add_i32 s28, s28, -1
	s_xor_b32 s35, s35, s36
	s_add_i32 s31, s31, 4
	s_sub_i32 s35, s36, s35
	s_delay_alu instid0(SALU_CYCLE_1) | instskip(NEXT) | instid1(SALU_CYCLE_1)
	s_add_i32 s33, s33, s35
	s_add_i32 s33, s33, s34
	s_cmp_lg_u32 s28, 0
	v_mov_b32_e32 v3, s33
	ds_store_b32 v2, v3
	s_cbranch_scc1 .LBB0_29
.LBB0_30:
	s_and_b32 vcc_lo, exec_lo, s29
	s_cbranch_vccz .LBB0_38
; %bb.31:
	s_cmp_lt_u32 s4, 8
	s_mov_b32 s29, 1
	s_cbranch_scc1 .LBB0_35
; %bb.32:
	s_lshl_b32 s29, s20, 2
	s_and_b32 s28, s4, 0x7ffffff8
	s_add_i32 s30, s29, 0xfffffc04
	s_mov_b32 s29, 0
	s_mul_i32 s30, s4, s30
	s_mov_b32 s33, 0
	s_mov_b32 s31, 0
.LBB0_33:                               ; =>This Inner Loop Header: Depth=1
	s_add_i32 s34, s29, s30
	s_delay_alu instid0(SALU_CYCLE_1) | instskip(SKIP_4) | instid1(VALU_DEP_2)
	v_mov_b32_e32 v2, s34
	ds_load_b32 v3, v2 offset:4
	s_waitcnt lgkmcnt(0)
	v_readfirstlane_b32 s34, v3
	v_mov_b32_e32 v3, s29
	s_add_i32 s34, s25, s34
	s_delay_alu instid0(SALU_CYCLE_1) | instskip(NEXT) | instid1(SALU_CYCLE_1)
	s_abs_i32 s35, s34
	s_mul_hi_u32 s36, s35, s22
	s_delay_alu instid0(SALU_CYCLE_1) | instskip(NEXT) | instid1(SALU_CYCLE_1)
	s_mul_i32 s36, s36, s21
	s_sub_i32 s35, s35, s36
	s_ashr_i32 s36, s34, 31
	s_sub_i32 s37, s35, s21
	s_cmp_ge_u32 s35, s21
	s_cselect_b32 s35, s37, s35
	s_delay_alu instid0(SALU_CYCLE_1) | instskip(SKIP_2) | instid1(SALU_CYCLE_1)
	s_sub_i32 s37, s35, s21
	s_cmp_ge_u32 s35, s21
	s_cselect_b32 s35, s37, s35
	s_xor_b32 s35, s35, s36
	s_delay_alu instid0(SALU_CYCLE_1) | instskip(NEXT) | instid1(SALU_CYCLE_1)
	s_sub_i32 s35, s36, s35
	s_add_i32 s33, s33, s35
	s_delay_alu instid0(SALU_CYCLE_1) | instskip(NEXT) | instid1(SALU_CYCLE_1)
	s_add_i32 s33, s33, s34
	v_mov_b32_e32 v4, s33
	ds_store_b32 v3, v4 offset:4
	ds_load_b32 v4, v2 offset:8
	s_waitcnt lgkmcnt(0)
	v_readfirstlane_b32 s34, v4
	s_delay_alu instid0(VALU_DEP_1) | instskip(NEXT) | instid1(SALU_CYCLE_1)
	s_add_i32 s34, s25, s34
	s_abs_i32 s35, s34
	s_delay_alu instid0(SALU_CYCLE_1) | instskip(NEXT) | instid1(SALU_CYCLE_1)
	s_mul_hi_u32 s36, s35, s22
	s_mul_i32 s36, s36, s21
	s_delay_alu instid0(SALU_CYCLE_1) | instskip(SKIP_4) | instid1(SALU_CYCLE_1)
	s_sub_i32 s35, s35, s36
	s_ashr_i32 s36, s34, 31
	s_sub_i32 s37, s35, s21
	s_cmp_ge_u32 s35, s21
	s_cselect_b32 s35, s37, s35
	s_sub_i32 s37, s35, s21
	s_cmp_ge_u32 s35, s21
	s_cselect_b32 s35, s37, s35
	s_delay_alu instid0(SALU_CYCLE_1) | instskip(NEXT) | instid1(SALU_CYCLE_1)
	s_xor_b32 s35, s35, s36
	s_sub_i32 s35, s36, s35
	s_delay_alu instid0(SALU_CYCLE_1) | instskip(NEXT) | instid1(SALU_CYCLE_1)
	s_add_i32 s33, s33, s35
	s_add_i32 s33, s33, s34
	s_delay_alu instid0(SALU_CYCLE_1) | instskip(SKIP_4) | instid1(VALU_DEP_1)
	v_mov_b32_e32 v4, s33
	ds_store_b32 v3, v4 offset:8
	ds_load_b32 v4, v2 offset:12
	s_waitcnt lgkmcnt(0)
	v_readfirstlane_b32 s34, v4
	s_add_i32 s34, s25, s34
	s_delay_alu instid0(SALU_CYCLE_1) | instskip(NEXT) | instid1(SALU_CYCLE_1)
	s_abs_i32 s35, s34
	s_mul_hi_u32 s36, s35, s22
	s_delay_alu instid0(SALU_CYCLE_1) | instskip(NEXT) | instid1(SALU_CYCLE_1)
	s_mul_i32 s36, s36, s21
	s_sub_i32 s35, s35, s36
	s_ashr_i32 s36, s34, 31
	s_sub_i32 s37, s35, s21
	s_cmp_ge_u32 s35, s21
	s_cselect_b32 s35, s37, s35
	s_delay_alu instid0(SALU_CYCLE_1) | instskip(SKIP_2) | instid1(SALU_CYCLE_1)
	s_sub_i32 s37, s35, s21
	s_cmp_ge_u32 s35, s21
	s_cselect_b32 s35, s37, s35
	s_xor_b32 s35, s35, s36
	s_delay_alu instid0(SALU_CYCLE_1) | instskip(NEXT) | instid1(SALU_CYCLE_1)
	s_sub_i32 s35, s36, s35
	s_add_i32 s33, s33, s35
	s_delay_alu instid0(SALU_CYCLE_1) | instskip(NEXT) | instid1(SALU_CYCLE_1)
	s_add_i32 s33, s33, s34
	v_mov_b32_e32 v4, s33
	ds_store_b32 v3, v4 offset:12
	ds_load_b32 v4, v2 offset:16
	s_waitcnt lgkmcnt(0)
	v_readfirstlane_b32 s34, v4
	s_delay_alu instid0(VALU_DEP_1) | instskip(NEXT) | instid1(SALU_CYCLE_1)
	s_add_i32 s34, s25, s34
	s_abs_i32 s35, s34
	s_delay_alu instid0(SALU_CYCLE_1) | instskip(NEXT) | instid1(SALU_CYCLE_1)
	s_mul_hi_u32 s36, s35, s22
	s_mul_i32 s36, s36, s21
	s_delay_alu instid0(SALU_CYCLE_1) | instskip(SKIP_4) | instid1(SALU_CYCLE_1)
	s_sub_i32 s35, s35, s36
	s_ashr_i32 s36, s34, 31
	s_sub_i32 s37, s35, s21
	s_cmp_ge_u32 s35, s21
	s_cselect_b32 s35, s37, s35
	s_sub_i32 s37, s35, s21
	s_cmp_ge_u32 s35, s21
	s_cselect_b32 s35, s37, s35
	s_delay_alu instid0(SALU_CYCLE_1) | instskip(NEXT) | instid1(SALU_CYCLE_1)
	s_xor_b32 s35, s35, s36
	s_sub_i32 s35, s36, s35
	s_delay_alu instid0(SALU_CYCLE_1) | instskip(NEXT) | instid1(SALU_CYCLE_1)
	s_add_i32 s33, s33, s35
	s_add_i32 s33, s33, s34
	s_delay_alu instid0(SALU_CYCLE_1) | instskip(SKIP_4) | instid1(VALU_DEP_1)
	v_mov_b32_e32 v4, s33
	ds_store_b32 v3, v4 offset:16
	ds_load_b32 v4, v2 offset:20
	s_waitcnt lgkmcnt(0)
	v_readfirstlane_b32 s34, v4
	;; [unrolled: 53-line block ×3, first 2 shown]
	s_add_i32 s34, s25, s34
	s_delay_alu instid0(SALU_CYCLE_1) | instskip(NEXT) | instid1(SALU_CYCLE_1)
	s_abs_i32 s35, s34
	s_mul_hi_u32 s36, s35, s22
	s_delay_alu instid0(SALU_CYCLE_1) | instskip(NEXT) | instid1(SALU_CYCLE_1)
	s_mul_i32 s36, s36, s21
	s_sub_i32 s35, s35, s36
	s_ashr_i32 s36, s34, 31
	s_sub_i32 s37, s35, s21
	s_cmp_ge_u32 s35, s21
	s_cselect_b32 s35, s37, s35
	s_delay_alu instid0(SALU_CYCLE_1) | instskip(SKIP_4) | instid1(SALU_CYCLE_1)
	s_sub_i32 s37, s35, s21
	s_cmp_ge_u32 s35, s21
	s_cselect_b32 s35, s37, s35
	s_add_i32 s29, s29, 32
	s_xor_b32 s35, s35, s36
	s_sub_i32 s35, s36, s35
	s_delay_alu instid0(SALU_CYCLE_1) | instskip(NEXT) | instid1(SALU_CYCLE_1)
	s_add_i32 s33, s33, s35
	s_add_i32 s33, s33, s34
	s_delay_alu instid0(SALU_CYCLE_1) | instskip(SKIP_4) | instid1(VALU_DEP_1)
	v_mov_b32_e32 v4, s33
	ds_store_b32 v3, v4 offset:28
	ds_load_b32 v2, v2 offset:32
	s_waitcnt lgkmcnt(0)
	v_readfirstlane_b32 s34, v2
	s_add_i32 s34, s25, s34
	s_delay_alu instid0(SALU_CYCLE_1) | instskip(NEXT) | instid1(SALU_CYCLE_1)
	s_abs_i32 s35, s34
	s_mul_hi_u32 s36, s35, s22
	s_delay_alu instid0(SALU_CYCLE_1) | instskip(NEXT) | instid1(SALU_CYCLE_1)
	s_mul_i32 s36, s36, s21
	s_sub_i32 s35, s35, s36
	s_ashr_i32 s36, s34, 31
	s_sub_i32 s37, s35, s21
	s_cmp_ge_u32 s35, s21
	s_cselect_b32 s35, s37, s35
	s_delay_alu instid0(SALU_CYCLE_1) | instskip(SKIP_2) | instid1(SALU_CYCLE_1)
	s_sub_i32 s37, s35, s21
	s_cmp_ge_u32 s35, s21
	s_cselect_b32 s35, s37, s35
	s_xor_b32 s35, s35, s36
	s_delay_alu instid0(SALU_CYCLE_1) | instskip(NEXT) | instid1(SALU_CYCLE_1)
	s_sub_i32 s35, s36, s35
	s_add_i32 s33, s33, s35
	s_delay_alu instid0(SALU_CYCLE_1) | instskip(SKIP_3) | instid1(SALU_CYCLE_1)
	s_add_i32 s33, s33, s34
	s_mov_b32 s34, s31
	v_mov_b32_e32 v2, s33
	s_add_i32 s31, s31, 8
	s_cmp_eq_u32 s28, s31
	ds_store_b32 v3, v2 offset:32
	s_cbranch_scc0 .LBB0_33
; %bb.34:
	s_add_i32 s29, s34, 9
.LBB0_35:
	s_and_b32 s28, s4, 7
	s_delay_alu instid0(SALU_CYCLE_1)
	s_cmp_eq_u32 s28, 0
	s_cbranch_scc1 .LBB0_38
; %bb.36:
	s_lshl_b32 s29, s29, 2
	s_delay_alu instid0(SALU_CYCLE_1) | instskip(NEXT) | instid1(SALU_CYCLE_1)
	s_add_i32 s29, s29, 0
	s_add_i32 s30, s29, -4
	s_lshl_b32 s29, s20, 2
	v_mov_b32_e32 v2, s30
	s_addk_i32 s29, 0xfc04
	s_delay_alu instid0(SALU_CYCLE_1)
	s_mul_i32 s29, s4, s29
	ds_load_b32 v2, v2
	.p2align	6
.LBB0_37:                               ; =>This Inner Loop Header: Depth=1
	s_add_i32 s31, s30, s29
	s_add_i32 s35, s30, 4
	v_mov_b32_e32 v3, s31
	ds_load_b32 v3, v3 offset:4
	s_waitcnt lgkmcnt(0)
	v_readfirstlane_b32 s31, v3
	s_delay_alu instid0(VALU_DEP_1) | instskip(NEXT) | instid1(SALU_CYCLE_1)
	s_add_i32 s31, s25, s31
	s_abs_i32 s33, s31
	s_delay_alu instid0(SALU_CYCLE_1) | instskip(NEXT) | instid1(SALU_CYCLE_1)
	s_mul_hi_u32 s34, s33, s22
	s_mul_i32 s34, s34, s21
	s_delay_alu instid0(SALU_CYCLE_1) | instskip(SKIP_4) | instid1(SALU_CYCLE_1)
	s_sub_i32 s33, s33, s34
	s_ashr_i32 s34, s31, 31
	s_sub_i32 s36, s33, s21
	s_cmp_ge_u32 s33, s21
	s_cselect_b32 s33, s36, s33
	s_sub_i32 s36, s33, s21
	s_cmp_ge_u32 s33, s21
	s_cselect_b32 s33, s36, s33
	s_add_i32 s28, s28, -1
	s_xor_b32 s33, s33, s34
	s_delay_alu instid0(SALU_CYCLE_1) | instskip(SKIP_3) | instid1(VALU_DEP_1)
	s_sub_i32 s33, s34, s33
	s_cmp_eq_u32 s28, 0
	v_dual_mov_b32 v3, s30 :: v_dual_add_nc_u32 v2, s33, v2
	s_mov_b32 s30, s35
	v_add_nc_u32_e32 v2, s31, v2
	ds_store_b32 v3, v2 offset:4
	s_cbranch_scc0 .LBB0_37
.LBB0_38:
	v_mov_b32_e32 v2, s19
	ds_load_b32 v2, v2
	s_waitcnt lgkmcnt(0)
	global_store_b32 v1, v2, s[10:11]
.LBB0_39:
	s_or_b32 exec_lo, exec_lo, s2
	s_waitcnt_vscnt null, 0x0
	s_barrier
	buffer_gl0_inv
	s_and_saveexec_b32 s2, s1
	s_cbranch_execz .LBB0_42
; %bb.40:
	v_lshl_add_u32 v1, v5, 2, 0
	s_mov_b32 s10, 0
	ds_load_2addr_b32 v[1:2], v1 offset1:1
	s_waitcnt lgkmcnt(0)
	v_cmp_lt_i32_e32 vcc_lo, v1, v2
	s_and_b32 exec_lo, exec_lo, vcc_lo
	s_cbranch_execz .LBB0_42
	.p2align	6
.LBB0_41:                               ; =>This Inner Loop Header: Depth=1
	v_sub_nc_u32_e32 v3, 0, v1
	s_delay_alu instid0(VALU_DEP_1) | instskip(NEXT) | instid1(VALU_DEP_1)
	v_max_i32_e32 v3, v1, v3
	v_mul_hi_u32 v4, v3, s22
	s_delay_alu instid0(VALU_DEP_1) | instskip(SKIP_1) | instid1(VALU_DEP_2)
	v_mul_lo_u32 v6, v4, s21
	v_add_nc_u32_e32 v7, 1, v4
	v_sub_nc_u32_e32 v3, v3, v6
	s_delay_alu instid0(VALU_DEP_1) | instskip(SKIP_1) | instid1(VALU_DEP_2)
	v_subrev_nc_u32_e32 v6, s21, v3
	v_cmp_le_u32_e32 vcc_lo, s21, v3
	v_dual_cndmask_b32 v4, v4, v7 :: v_dual_cndmask_b32 v3, v3, v6
	v_ashrrev_i32_e32 v7, 31, v1
	v_add_nc_u32_e32 v1, s5, v1
	s_delay_alu instid0(VALU_DEP_3) | instskip(NEXT) | instid1(VALU_DEP_4)
	v_add_nc_u32_e32 v6, 1, v4
	v_cmp_le_u32_e32 vcc_lo, s21, v3
	s_delay_alu instid0(VALU_DEP_4) | instskip(NEXT) | instid1(VALU_DEP_3)
	v_xor_b32_e32 v7, s26, v7
	v_cndmask_b32_e32 v3, v4, v6, vcc_lo
	v_cmp_ge_i32_e32 vcc_lo, v1, v2
	s_delay_alu instid0(VALU_DEP_2) | instskip(SKIP_1) | instid1(VALU_DEP_1)
	v_xor_b32_e32 v3, v3, v7
	s_or_b32 s10, vcc_lo, s10
	v_sub_nc_u32_e32 v3, v3, v7
	s_delay_alu instid0(VALU_DEP_1) | instskip(NEXT) | instid1(VALU_DEP_1)
	v_ashrrev_i32_e32 v4, 31, v3
	v_lshlrev_b64 v[3:4], 2, v[3:4]
	s_delay_alu instid0(VALU_DEP_1) | instskip(NEXT) | instid1(VALU_DEP_1)
	v_add_co_u32 v3, s1, s8, v3
	v_add_co_ci_u32_e64 v4, s1, s9, v4, s1
	global_store_b32 v[3:4], v5, off
	s_and_not1_b32 exec_lo, exec_lo, s10
	s_cbranch_execnz .LBB0_41
.LBB0_42:
	s_or_b32 exec_lo, exec_lo, s2
	v_mov_b32_e32 v1, s19
	s_mul_i32 s1, s24, s21
	s_xor_b32 s2, s27, s26
	s_sub_i32 s1, s23, s1
	s_add_i32 s5, s24, 1
	ds_load_b32 v1, v1
	s_sub_i32 s10, s1, s21
	s_cmp_ge_u32 s1, s21
	s_cselect_b32 s5, s5, s24
	s_cselect_b32 s1, s10, s1
	s_add_i32 s11, s5, 1
	s_cmp_ge_u32 s1, s21
	s_cselect_b32 s1, s11, s5
	s_delay_alu instid0(SALU_CYCLE_1) | instskip(NEXT) | instid1(SALU_CYCLE_1)
	s_xor_b32 s1, s1, s2
	s_sub_i32 s2, s1, s2
	s_waitcnt lgkmcnt(0)
	v_readfirstlane_b32 s10, v1
	v_ashrrev_i32_e32 v1, 31, v1
	s_delay_alu instid0(VALU_DEP_2) | instskip(NEXT) | instid1(VALU_DEP_1)
	s_abs_i32 s5, s10
	v_xor_b32_e32 v1, s26, v1
	s_mul_hi_u32 s10, s5, s22
	s_delay_alu instid0(SALU_CYCLE_1) | instskip(NEXT) | instid1(SALU_CYCLE_1)
	s_mul_i32 s1, s10, s21
	s_sub_i32 s1, s5, s1
	s_add_i32 s5, s10, 1
	s_sub_i32 s11, s1, s21
	s_cmp_ge_u32 s1, s21
	s_cselect_b32 s5, s5, s10
	s_cselect_b32 s1, s11, s1
	s_add_i32 s10, s5, 1
	s_cmp_ge_u32 s1, s21
	s_cselect_b32 s1, s10, s5
	s_mov_b32 s5, exec_lo
	v_xor_b32_e32 v2, s1, v1
	s_delay_alu instid0(VALU_DEP_1) | instskip(NEXT) | instid1(VALU_DEP_1)
	v_sub_nc_u32_e32 v1, v2, v1
	v_add_nc_u32_e32 v1, v1, v5
	s_delay_alu instid0(VALU_DEP_1)
	v_cmpx_gt_i32_e64 s2, v1
	s_cbranch_execz .LBB0_45
; %bb.43:
	v_ashrrev_i32_e32 v2, 31, v1
	s_lshl_b32 s1, s20, 2
	v_mov_b32_e32 v4, 0
	s_delay_alu instid0(VALU_DEP_2) | instskip(NEXT) | instid1(VALU_DEP_1)
	v_lshlrev_b64 v[2:3], 2, v[1:2]
	v_add_co_u32 v2, vcc_lo, s8, v2
	s_delay_alu instid0(VALU_DEP_2)
	v_add_co_ci_u32_e32 v3, vcc_lo, s9, v3, vcc_lo
	s_add_u32 s9, s1, 0xfffffc00
	s_mov_b32 s8, 0
	s_addc_u32 s10, 0, -1
.LBB0_44:                               ; =>This Inner Loop Header: Depth=1
	v_add_nc_u32_e32 v1, s18, v1
	global_store_b32 v[2:3], v4, off
	v_add_co_u32 v2, s1, v2, s9
	s_delay_alu instid0(VALU_DEP_1) | instskip(SKIP_2) | instid1(SALU_CYCLE_1)
	v_add_co_ci_u32_e64 v3, s1, s10, v3, s1
	v_cmp_le_i32_e32 vcc_lo, s2, v1
	s_or_b32 s8, vcc_lo, s8
	s_and_not1_b32 exec_lo, exec_lo, s8
	s_cbranch_execnz .LBB0_44
.LBB0_45:
	s_or_b32 exec_lo, exec_lo, s5
	s_and_saveexec_b32 s1, s0
	s_cbranch_execz .LBB0_52
; %bb.46:
	v_mul_lo_u32 v1, v5, s4
	v_lshlrev_b32_e32 v0, 2, v0
	s_cmp_eq_u64 s[14:15], 0
	s_mov_b32 s5, 0
	s_cselect_b32 s2, -1, 0
	s_cmp_lg_u64 s[14:15], 0
	v_add_co_u32 v0, s0, v0, s16
	s_delay_alu instid0(VALU_DEP_3) | instskip(SKIP_1) | instid1(VALU_DEP_3)
	v_lshlrev_b32_e32 v1, 2, v1
	v_add_co_ci_u32_e64 v2, null, 0, s17, s0
	v_add_co_u32 v0, vcc_lo, 0xfffffc00, v0
	s_delay_alu instid0(VALU_DEP_3) | instskip(NEXT) | instid1(VALU_DEP_3)
	v_add3_u32 v4, s19, v1, 4
	v_add_co_ci_u32_e32 v1, vcc_lo, -1, v2, vcc_lo
	s_cselect_b32 s4, -1, 0
	s_lshl_b32 s0, s20, 2
	s_delay_alu instid0(SALU_CYCLE_1)
	s_add_u32 s8, s0, 0xfffffc00
	s_addc_u32 s9, 0, -1
	s_branch .LBB0_49
.LBB0_47:                               ;   in Loop: Header=BB0_49 Depth=1
	s_waitcnt vmcnt(0)
	v_lshlrev_b32_e32 v2, 2, v2
	s_delay_alu instid0(VALU_DEP_1)
	v_add_nc_u32_e32 v6, v4, v2
	v_add_nc_u32_e32 v2, 0, v2
	ds_load_b32 v7, v6
	ds_load_b32 v2, v2
	s_waitcnt lgkmcnt(0)
	v_add_nc_u32_e32 v2, v2, v7
	v_add_nc_u32_e32 v7, 1, v7
	s_delay_alu instid0(VALU_DEP_2) | instskip(SKIP_2) | instid1(VALU_DEP_1)
	v_ashrrev_i32_e32 v3, 31, v2
	ds_store_b32 v6, v7
	v_lshlrev_b64 v[2:3], 2, v[2:3]
	v_add_co_u32 v2, vcc_lo, s12, v2
	s_delay_alu instid0(VALU_DEP_2)
	v_add_co_ci_u32_e32 v3, vcc_lo, s13, v3, vcc_lo
	global_store_b32 v[2:3], v5, off
.LBB0_48:                               ;   in Loop: Header=BB0_49 Depth=1
	s_or_b32 exec_lo, exec_lo, s0
	v_add_nc_u32_e32 v5, s18, v5
	v_add_co_u32 v0, s0, v0, s8
	s_delay_alu instid0(VALU_DEP_1) | instskip(NEXT) | instid1(VALU_DEP_3)
	v_add_co_ci_u32_e64 v1, s0, s9, v1, s0
	v_cmp_le_i32_e32 vcc_lo, s6, v5
	s_or_b32 s5, vcc_lo, s5
	s_delay_alu instid0(SALU_CYCLE_1)
	s_and_not1_b32 exec_lo, exec_lo, s5
	s_cbranch_execz .LBB0_52
.LBB0_49:                               ; =>This Inner Loop Header: Depth=1
	global_load_b32 v2, v[0:1], off
	s_and_not1_b32 vcc_lo, exec_lo, s4
	s_cbranch_vccnz .LBB0_51
; %bb.50:                               ;   in Loop: Header=BB0_49 Depth=1
	s_waitcnt vmcnt(0)
	v_ashrrev_i32_e32 v3, 31, v2
	s_and_not1_b32 s0, s2, exec_lo
	s_delay_alu instid0(VALU_DEP_1) | instskip(NEXT) | instid1(VALU_DEP_1)
	v_lshlrev_b64 v[2:3], 2, v[2:3]
	v_add_co_u32 v2, vcc_lo, s14, v2
	s_delay_alu instid0(VALU_DEP_2) | instskip(SKIP_4) | instid1(SALU_CYCLE_1)
	v_add_co_ci_u32_e32 v3, vcc_lo, s15, v3, vcc_lo
	global_load_b32 v2, v[2:3], off
	s_waitcnt vmcnt(0)
	v_cmp_ne_u32_e32 vcc_lo, -1, v2
	s_and_b32 s10, vcc_lo, exec_lo
	s_or_b32 s10, s0, s10
	s_delay_alu instid0(SALU_CYCLE_1)
	s_and_saveexec_b32 s0, s10
	s_cbranch_execz .LBB0_48
	s_branch .LBB0_47
.LBB0_51:                               ;   in Loop: Header=BB0_49 Depth=1
	s_mov_b32 s10, s2
	s_delay_alu instid0(SALU_CYCLE_1)
	s_and_saveexec_b32 s0, s10
	s_cbranch_execz .LBB0_48
	s_branch .LBB0_47
.LBB0_52:
	s_or_b32 exec_lo, exec_lo, s1
                                        ; implicit-def: $vgpr0
.LBB0_53:
	s_and_not1_saveexec_b32 s0, s3
	s_cbranch_execz .LBB0_58
; %bb.54:
	s_mov_b32 s1, exec_lo
	v_cmpx_gt_i32_e64 s7, v0
	s_cbranch_execz .LBB0_57
; %bb.55:
	v_lshlrev_b32_e32 v1, 2, v0
	v_mov_b32_e32 v3, s6
	s_mov_b32 s2, 0
	s_delay_alu instid0(VALU_DEP_2)
	v_add_co_u32 v1, s0, s12, v1
	s_waitcnt vmcnt(0)
	v_add_co_ci_u32_e64 v2, null, s13, 0, s0
.LBB0_56:                               ; =>This Inner Loop Header: Depth=1
	v_add_nc_u32_e32 v0, 0x100, v0
	global_store_b32 v[1:2], v3, off
	v_add_co_u32 v1, s0, 0x400, v1
	s_delay_alu instid0(VALU_DEP_1) | instskip(SKIP_2) | instid1(SALU_CYCLE_1)
	v_add_co_ci_u32_e64 v2, s0, 0, v2, s0
	v_cmp_le_i32_e32 vcc_lo, s7, v0
	s_or_b32 s2, vcc_lo, s2
	s_and_not1_b32 exec_lo, exec_lo, s2
	s_cbranch_execnz .LBB0_56
.LBB0_57:
	s_or_b32 exec_lo, exec_lo, s1
	s_waitcnt vmcnt(0) lgkmcnt(0)
	s_waitcnt_vscnt null, 0x0
	s_barrier
	buffer_gl0_inv
.LBB0_58:
	s_nop 0
	s_sendmsg sendmsg(MSG_DEALLOC_VGPRS)
	s_endpgm
	.section	.rodata,"a",@progbits
	.p2align	6, 0x0
	.amdhsa_kernel _Z46moe_align_block_size_small_batch_expert_kernelIiLi256EEvPKT_PiS3_S3_S3_iiiii
		.amdhsa_group_segment_fixed_size 0
		.amdhsa_private_segment_fixed_size 0
		.amdhsa_kernarg_size 320
		.amdhsa_user_sgpr_count 15
		.amdhsa_user_sgpr_dispatch_ptr 0
		.amdhsa_user_sgpr_queue_ptr 0
		.amdhsa_user_sgpr_kernarg_segment_ptr 1
		.amdhsa_user_sgpr_dispatch_id 0
		.amdhsa_user_sgpr_private_segment_size 0
		.amdhsa_wavefront_size32 1
		.amdhsa_uses_dynamic_stack 0
		.amdhsa_enable_private_segment 0
		.amdhsa_system_sgpr_workgroup_id_x 1
		.amdhsa_system_sgpr_workgroup_id_y 0
		.amdhsa_system_sgpr_workgroup_id_z 0
		.amdhsa_system_sgpr_workgroup_info 0
		.amdhsa_system_vgpr_workitem_id 0
		.amdhsa_next_free_vgpr 8
		.amdhsa_next_free_sgpr 38
		.amdhsa_reserve_vcc 1
		.amdhsa_float_round_mode_32 0
		.amdhsa_float_round_mode_16_64 0
		.amdhsa_float_denorm_mode_32 3
		.amdhsa_float_denorm_mode_16_64 3
		.amdhsa_dx10_clamp 1
		.amdhsa_ieee_mode 1
		.amdhsa_fp16_overflow 0
		.amdhsa_workgroup_processor_mode 1
		.amdhsa_memory_ordered 1
		.amdhsa_forward_progress 0
		.amdhsa_shared_vgpr_count 0
		.amdhsa_exception_fp_ieee_invalid_op 0
		.amdhsa_exception_fp_denorm_src 0
		.amdhsa_exception_fp_ieee_div_zero 0
		.amdhsa_exception_fp_ieee_overflow 0
		.amdhsa_exception_fp_ieee_underflow 0
		.amdhsa_exception_fp_ieee_inexact 0
		.amdhsa_exception_int_div_zero 0
	.end_amdhsa_kernel
	.section	.text._Z46moe_align_block_size_small_batch_expert_kernelIiLi256EEvPKT_PiS3_S3_S3_iiiii,"axG",@progbits,_Z46moe_align_block_size_small_batch_expert_kernelIiLi256EEvPKT_PiS3_S3_S3_iiiii,comdat
.Lfunc_end0:
	.size	_Z46moe_align_block_size_small_batch_expert_kernelIiLi256EEvPKT_PiS3_S3_S3_iiiii, .Lfunc_end0-_Z46moe_align_block_size_small_batch_expert_kernelIiLi256EEvPKT_PiS3_S3_S3_iiiii
                                        ; -- End function
	.section	.AMDGPU.csdata,"",@progbits
; Kernel info:
; codeLenInByte = 4564
; NumSgprs: 40
; NumVgprs: 8
; ScratchSize: 0
; MemoryBound: 0
; FloatMode: 240
; IeeeMode: 1
; LDSByteSize: 0 bytes/workgroup (compile time only)
; SGPRBlocks: 4
; VGPRBlocks: 0
; NumSGPRsForWavesPerEU: 40
; NumVGPRsForWavesPerEU: 8
; Occupancy: 16
; WaveLimiterHint : 1
; COMPUTE_PGM_RSRC2:SCRATCH_EN: 0
; COMPUTE_PGM_RSRC2:USER_SGPR: 15
; COMPUTE_PGM_RSRC2:TRAP_HANDLER: 0
; COMPUTE_PGM_RSRC2:TGID_X_EN: 1
; COMPUTE_PGM_RSRC2:TGID_Y_EN: 0
; COMPUTE_PGM_RSRC2:TGID_Z_EN: 0
; COMPUTE_PGM_RSRC2:TIDIG_COMP_CNT: 0
	.section	.text._Z27moe_align_block_size_kernelIiEvPKT_PiS3_S3_S3_iiiiiS3_ii,"axG",@progbits,_Z27moe_align_block_size_kernelIiEvPKT_PiS3_S3_S3_iiiiiS3_ii,comdat
	.protected	_Z27moe_align_block_size_kernelIiEvPKT_PiS3_S3_S3_iiiiiS3_ii ; -- Begin function _Z27moe_align_block_size_kernelIiEvPKT_PiS3_S3_S3_iiiiiS3_ii
	.globl	_Z27moe_align_block_size_kernelIiEvPKT_PiS3_S3_S3_iiiiiS3_ii
	.p2align	8
	.type	_Z27moe_align_block_size_kernelIiEvPKT_PiS3_S3_S3_iiiiiS3_ii,@function
_Z27moe_align_block_size_kernelIiEvPKT_PiS3_S3_S3_iiiiiS3_ii: ; @_Z27moe_align_block_size_kernelIiEvPKT_PiS3_S3_S3_iiiiiS3_ii
; %bb.0:
	s_clause 0x2
	s_load_b128 s[4:7], s[0:1], 0x28
	s_load_b32 s17, s[0:1], 0x38
	s_load_b32 s3, s[0:1], 0x48
	s_mov_b32 s2, -1
	s_waitcnt lgkmcnt(0)
	s_abs_i32 s14, s7
	s_bitcmp0_b32 s15, 0
	v_cvt_f32_u32_e32 v1, s14
	s_delay_alu instid0(VALU_DEP_1) | instskip(SKIP_2) | instid1(VALU_DEP_1)
	v_rcp_iflag_f32_e32 v1, v1
	s_waitcnt_depctr 0xfff
	v_mul_f32_e32 v1, 0x4f7ffffe, v1
	v_cvt_u32_f32_e32 v1, v1
	s_delay_alu instid0(VALU_DEP_1)
	v_readfirstlane_b32 s10, v1
	s_cbranch_scc1 .LBB1_5
; %bb.1:
	s_mov_b32 s11, exec_lo
	v_cmpx_gt_i32_e64 s3, v0
	s_cbranch_execz .LBB1_4
; %bb.2:
	s_clause 0x1
	s_load_b32 s2, s[0:1], 0x5c
	s_load_b64 s[8:9], s[0:1], 0x8
	v_mov_b32_e32 v3, s17
	v_mov_b32_e32 v1, v0
	s_mov_b32 s13, 0
	s_waitcnt lgkmcnt(0)
	s_and_b32 s12, s2, 0xffff
.LBB1_3:                                ; =>This Inner Loop Header: Depth=1
	s_delay_alu instid0(VALU_DEP_1) | instskip(NEXT) | instid1(VALU_DEP_1)
	v_ashrrev_i32_e32 v2, 31, v1
	v_lshlrev_b64 v[4:5], 2, v[1:2]
	v_add_nc_u32_e32 v1, s12, v1
	s_delay_alu instid0(VALU_DEP_1) | instskip(NEXT) | instid1(VALU_DEP_3)
	v_cmp_le_i32_e32 vcc_lo, s3, v1
	v_add_co_u32 v4, s2, s8, v4
	s_delay_alu instid0(VALU_DEP_1)
	v_add_co_ci_u32_e64 v5, s2, s9, v5, s2
	s_or_b32 s13, vcc_lo, s13
	global_store_b32 v[4:5], v3, off
	s_and_not1_b32 exec_lo, exec_lo, s13
	s_cbranch_execnz .LBB1_3
.LBB1_4:
	s_or_b32 exec_lo, exec_lo, s11
	s_mov_b32 s2, 0
.LBB1_5:
	s_delay_alu instid0(SALU_CYCLE_1)
	s_and_not1_b32 vcc_lo, exec_lo, s2
	s_cbranch_vccnz .LBB1_54
; %bb.6:
	s_sub_i32 s2, 0, s14
	s_add_i32 s18, s7, -1
	s_mul_i32 s2, s2, s10
	s_add_i32 s19, s18, s3
	s_mul_hi_u32 s2, s10, s2
	v_lshrrev_b32_e32 v6, 5, v0
	s_abs_i32 s16, s19
	s_add_i32 s15, s10, s2
	s_cmp_lt_i32 s6, 1
	s_cbranch_scc1 .LBB1_31
; %bb.7:
	v_mul_lo_u32 v1, v6, s6
	s_cmp_lt_u32 s6, 8
	s_mov_b32 s2, 0
	s_cbranch_scc1 .LBB1_26
; %bb.8:
	s_delay_alu instid0(VALU_DEP_1)
	v_lshl_add_u32 v2, v1, 2, 0x1080
	v_mov_b32_e32 v3, 0
	s_and_b32 s2, s6, 0x7ffffff8
	s_mov_b32 s3, 0
	s_branch .LBB1_10
.LBB1_9:                                ;   in Loop: Header=BB1_10 Depth=1
	s_or_b32 exec_lo, exec_lo, s8
	v_add_nc_u32_e32 v2, 32, v2
	s_add_i32 s3, s3, 8
	s_delay_alu instid0(SALU_CYCLE_1)
	s_cmp_eq_u32 s2, s3
	s_cbranch_scc1 .LBB1_26
.LBB1_10:                               ; =>This Inner Loop Header: Depth=1
	v_add_nc_u32_e32 v4, s3, v1
	s_mov_b32 s8, exec_lo
	s_delay_alu instid0(VALU_DEP_1)
	v_cmpx_gt_i32_e64 s5, v4
	s_cbranch_execz .LBB1_12
; %bb.11:                               ;   in Loop: Header=BB1_10 Depth=1
	ds_store_b32 v2, v3
.LBB1_12:                               ;   in Loop: Header=BB1_10 Depth=1
	s_or_b32 exec_lo, exec_lo, s8
	v_add_nc_u32_e32 v5, 1, v4
	s_mov_b32 s8, exec_lo
	s_delay_alu instid0(VALU_DEP_1)
	v_cmpx_gt_i32_e64 s5, v5
	s_cbranch_execz .LBB1_14
; %bb.13:                               ;   in Loop: Header=BB1_10 Depth=1
	ds_store_b32 v2, v3 offset:4
.LBB1_14:                               ;   in Loop: Header=BB1_10 Depth=1
	s_or_b32 exec_lo, exec_lo, s8
	v_add_nc_u32_e32 v5, 2, v4
	s_mov_b32 s8, exec_lo
	s_delay_alu instid0(VALU_DEP_1)
	v_cmpx_gt_i32_e64 s5, v5
	s_cbranch_execz .LBB1_16
; %bb.15:                               ;   in Loop: Header=BB1_10 Depth=1
	ds_store_b32 v2, v3 offset:8
.LBB1_16:                               ;   in Loop: Header=BB1_10 Depth=1
	;; [unrolled: 9-line block ×6, first 2 shown]
	s_or_b32 exec_lo, exec_lo, s8
	v_add_nc_u32_e32 v4, 7, v4
	s_mov_b32 s8, exec_lo
	s_delay_alu instid0(VALU_DEP_1)
	v_cmpx_gt_i32_e64 s5, v4
	s_cbranch_execz .LBB1_9
; %bb.25:                               ;   in Loop: Header=BB1_10 Depth=1
	ds_store_b32 v2, v3 offset:28
	s_branch .LBB1_9
.LBB1_26:
	s_and_b32 s3, s6, 7
	s_delay_alu instid0(SALU_CYCLE_1)
	s_cmp_eq_u32 s3, 0
	s_cbranch_scc1 .LBB1_31
; %bb.27:
	s_delay_alu instid0(VALU_DEP_1) | instskip(SKIP_1) | instid1(VALU_DEP_2)
	v_add_nc_u32_e32 v1, s2, v1
	v_mov_b32_e32 v3, 0
	v_lshl_add_u32 v2, v1, 2, 0x1080
	s_branch .LBB1_29
.LBB1_28:                               ;   in Loop: Header=BB1_29 Depth=1
	s_or_b32 exec_lo, exec_lo, s2
	v_add_nc_u32_e32 v2, 4, v2
	v_add_nc_u32_e32 v1, 1, v1
	s_add_i32 s3, s3, -1
	s_delay_alu instid0(SALU_CYCLE_1)
	s_cmp_lg_u32 s3, 0
	s_cbranch_scc0 .LBB1_31
.LBB1_29:                               ; =>This Inner Loop Header: Depth=1
	s_mov_b32 s2, exec_lo
	v_cmpx_gt_i32_e64 s5, v1
	s_cbranch_execz .LBB1_28
; %bb.30:                               ;   in Loop: Header=BB1_29 Depth=1
	ds_store_b32 v2, v3
	s_branch .LBB1_28
.LBB1_31:
	s_waitcnt lgkmcnt(0)
	s_waitcnt_vscnt null, 0x0
	s_barrier
	buffer_gl0_inv
	s_clause 0x2
	s_load_b32 s6, s[0:1], 0x5c
	s_load_b64 s[2:3], s[0:1], 0x40
	s_load_b128 s[8:11], s[0:1], 0x10
	v_lshlrev_b32_e32 v5, 2, v0
	s_mul_hi_u32 s5, s16, s15
	s_mov_b32 s20, exec_lo
	s_waitcnt lgkmcnt(0)
	s_and_b32 s6, s6, 0xffff
	v_cmpx_gt_i32_e64 s17, v0
	s_cbranch_execz .LBB1_39
; %bb.32:
	s_clause 0x1
	s_load_b64 s[12:13], s[0:1], 0x20
	s_load_b64 s[22:23], s[0:1], 0x0
	v_dual_mov_b32 v7, 1 :: v_dual_mov_b32 v8, v0
	s_waitcnt lgkmcnt(0)
	s_cmp_eq_u64 s[12:13], 0
	v_add_co_u32 v1, s0, s22, v5
	s_delay_alu instid0(VALU_DEP_1)
	v_add_co_ci_u32_e64 v2, null, s23, 0, s0
	s_cselect_b32 s1, -1, 0
	s_cmp_lg_u64 s[12:13], 0
	s_mov_b32 s22, 0
	s_cselect_b32 s21, -1, 0
	s_lshl_b32 s23, s6, 2
	s_set_inst_prefetch_distance 0x1
	s_branch .LBB1_34
	.p2align	6
.LBB1_33:                               ;   in Loop: Header=BB1_34 Depth=1
	s_or_b32 exec_lo, exec_lo, s0
	v_add_nc_u32_e32 v8, s6, v8
	v_add_co_u32 v1, s0, v1, s23
	s_delay_alu instid0(VALU_DEP_1) | instskip(NEXT) | instid1(VALU_DEP_3)
	v_add_co_ci_u32_e64 v2, s0, 0, v2, s0
	v_cmp_le_i32_e32 vcc_lo, s17, v8
	s_or_b32 s22, vcc_lo, s22
	s_delay_alu instid0(SALU_CYCLE_1)
	s_and_not1_b32 exec_lo, exec_lo, s22
	s_cbranch_execz .LBB1_39
.LBB1_34:                               ; =>This Inner Loop Header: Depth=1
	global_load_b32 v3, v[1:2], off
	s_mov_b32 s0, exec_lo
	s_waitcnt vmcnt(0)
	v_cmpx_gt_i32_e64 s4, v3
	s_cbranch_execz .LBB1_33
; %bb.35:                               ;   in Loop: Header=BB1_34 Depth=1
	s_and_not1_b32 vcc_lo, exec_lo, s21
	s_cbranch_vccnz .LBB1_37
; %bb.36:                               ;   in Loop: Header=BB1_34 Depth=1
	v_ashrrev_i32_e32 v4, 31, v3
	s_and_not1_b32 s24, s1, exec_lo
	s_delay_alu instid0(VALU_DEP_1) | instskip(NEXT) | instid1(VALU_DEP_1)
	v_lshlrev_b64 v[3:4], 2, v[3:4]
	v_add_co_u32 v3, vcc_lo, s12, v3
	s_delay_alu instid0(VALU_DEP_2) | instskip(SKIP_4) | instid1(SALU_CYCLE_1)
	v_add_co_ci_u32_e32 v4, vcc_lo, s13, v4, vcc_lo
	global_load_b32 v3, v[3:4], off
	s_waitcnt vmcnt(0)
	v_cmp_ne_u32_e32 vcc_lo, -1, v3
	s_and_b32 s25, vcc_lo, exec_lo
	s_or_b32 s24, s24, s25
	s_delay_alu instid0(SALU_CYCLE_1)
	s_and_b32 exec_lo, exec_lo, s24
	s_cbranch_execz .LBB1_33
	s_branch .LBB1_38
.LBB1_37:                               ;   in Loop: Header=BB1_34 Depth=1
	s_mov_b32 s24, s1
	s_delay_alu instid0(SALU_CYCLE_1)
	s_and_b32 exec_lo, exec_lo, s24
	s_cbranch_execz .LBB1_33
.LBB1_38:                               ;   in Loop: Header=BB1_34 Depth=1
	v_lshl_add_u32 v3, v3, 2, 0x1080
	ds_add_u32 v3, v7
	s_branch .LBB1_33
.LBB1_39:
	s_set_inst_prefetch_distance 0x2
	s_or_b32 exec_lo, exec_lo, s20
	v_mov_b32_e32 v1, 0
	s_ashr_i32 s12, s19, 31
	s_ashr_i32 s1, s7, 31
	s_mov_b32 s0, exec_lo
	s_waitcnt lgkmcnt(0)
	s_barrier
	buffer_gl0_inv
	v_cmpx_gt_i32_e64 s4, v0
	s_cbranch_execz .LBB1_41
; %bb.40:
	v_lshl_add_u32 v1, v0, 2, 0x1080
	ds_load_b32 v1, v1
	s_waitcnt lgkmcnt(0)
	v_add_nc_u32_e32 v1, s18, v1
	s_delay_alu instid0(VALU_DEP_1) | instskip(NEXT) | instid1(VALU_DEP_1)
	v_sub_nc_u32_e32 v2, 0, v1
	v_max_i32_e32 v2, v1, v2
	s_delay_alu instid0(VALU_DEP_1) | instskip(NEXT) | instid1(VALU_DEP_1)
	v_mul_hi_u32 v3, v2, s15
	v_mul_lo_u32 v3, v3, s14
	s_delay_alu instid0(VALU_DEP_1) | instskip(NEXT) | instid1(VALU_DEP_1)
	v_sub_nc_u32_e32 v2, v2, v3
	v_subrev_nc_u32_e32 v3, s14, v2
	v_cmp_le_u32_e32 vcc_lo, s14, v2
	s_delay_alu instid0(VALU_DEP_2) | instskip(SKIP_1) | instid1(VALU_DEP_2)
	v_cndmask_b32_e32 v2, v2, v3, vcc_lo
	v_ashrrev_i32_e32 v4, 31, v1
	v_subrev_nc_u32_e32 v3, s14, v2
	v_cmp_le_u32_e32 vcc_lo, s14, v2
	s_delay_alu instid0(VALU_DEP_2) | instskip(NEXT) | instid1(VALU_DEP_1)
	v_cndmask_b32_e32 v2, v2, v3, vcc_lo
	v_xor_b32_e32 v2, v2, v4
	s_delay_alu instid0(VALU_DEP_1) | instskip(NEXT) | instid1(VALU_DEP_1)
	v_sub_nc_u32_e32 v2, v4, v2
	v_add_nc_u32_e32 v1, v1, v2
.LBB1_41:
	s_or_b32 exec_lo, exec_lo, s0
	v_add_lshl_u32 v2, v6, v0, 2
	s_mov_b32 s0, exec_lo
	ds_store_b32 v2, v1
	s_waitcnt lgkmcnt(0)
	s_barrier
	buffer_gl0_inv
	v_cmpx_gt_u32_e32 32, v0
	s_cbranch_execz .LBB1_43
; %bb.42:
	v_mul_u32_u24_e32 v2, 33, v0
	s_delay_alu instid0(VALU_DEP_1)
	v_lshlrev_b32_e32 v14, 2, v2
	ds_load_2addr_b32 v[2:3], v14 offset1:1
	ds_load_2addr_b32 v[6:7], v14 offset0:2 offset1:3
	ds_load_2addr_b32 v[8:9], v14 offset0:4 offset1:5
	;; [unrolled: 1-line block ×3, first 2 shown]
	s_waitcnt lgkmcnt(3)
	v_add_nc_u32_e32 v12, v3, v2
	ds_load_2addr_b32 v[3:4], v14 offset0:8 offset1:9
	s_waitcnt lgkmcnt(3)
	v_add3_u32 v12, v12, v6, v7
	ds_load_2addr_b32 v[6:7], v14 offset0:10 offset1:11
	s_waitcnt lgkmcnt(3)
	v_add3_u32 v12, v12, v8, v9
	;; [unrolled: 3-line block ×10, first 2 shown]
	ds_load_2addr_b32 v[8:9], v14 offset0:28 offset1:29
	ds_load_2addr_b32 v[12:13], v14 offset0:30 offset1:31
	; wave barrier
	s_waitcnt lgkmcnt(4)
	v_add3_u32 v10, v15, v10, v11
	s_waitcnt lgkmcnt(3)
	s_delay_alu instid0(VALU_DEP_1) | instskip(SKIP_2) | instid1(VALU_DEP_2)
	v_add3_u32 v3, v10, v3, v4
	v_mbcnt_lo_u32_b32 v4, -1, 0
	s_waitcnt lgkmcnt(2)
	v_add3_u32 v3, v3, v6, v7
	s_delay_alu instid0(VALU_DEP_2) | instskip(SKIP_1) | instid1(VALU_DEP_2)
	v_and_b32_e32 v6, 15, v4
	s_waitcnt lgkmcnt(1)
	v_add3_u32 v3, v3, v8, v9
	s_delay_alu instid0(VALU_DEP_2) | instskip(SKIP_2) | instid1(VALU_DEP_3)
	v_cmp_ne_u32_e32 vcc_lo, 0, v6
	v_bfe_i32 v8, v4, 4, 1
	s_waitcnt lgkmcnt(0)
	v_add3_u32 v3, v3, v12, v13
	s_delay_alu instid0(VALU_DEP_1) | instskip(NEXT) | instid1(VALU_DEP_1)
	v_mov_b32_dpp v7, v3 row_shr:1 row_mask:0xf bank_mask:0xf
	v_cndmask_b32_e32 v7, 0, v7, vcc_lo
	v_cmp_lt_u32_e32 vcc_lo, 1, v6
	s_delay_alu instid0(VALU_DEP_2) | instskip(NEXT) | instid1(VALU_DEP_1)
	v_add_nc_u32_e32 v3, v7, v3
	v_mov_b32_dpp v7, v3 row_shr:2 row_mask:0xf bank_mask:0xf
	s_delay_alu instid0(VALU_DEP_1) | instskip(SKIP_1) | instid1(VALU_DEP_2)
	v_cndmask_b32_e32 v7, 0, v7, vcc_lo
	v_cmp_lt_u32_e32 vcc_lo, 3, v6
	v_add_nc_u32_e32 v3, v3, v7
	s_delay_alu instid0(VALU_DEP_1) | instskip(NEXT) | instid1(VALU_DEP_1)
	v_mov_b32_dpp v7, v3 row_shr:4 row_mask:0xf bank_mask:0xf
	v_cndmask_b32_e32 v7, 0, v7, vcc_lo
	v_cmp_lt_u32_e32 vcc_lo, 7, v6
	s_delay_alu instid0(VALU_DEP_2) | instskip(NEXT) | instid1(VALU_DEP_1)
	v_add_nc_u32_e32 v3, v3, v7
	v_mov_b32_dpp v7, v3 row_shr:8 row_mask:0xf bank_mask:0xf
	s_delay_alu instid0(VALU_DEP_1) | instskip(NEXT) | instid1(VALU_DEP_1)
	v_dual_cndmask_b32 v6, 0, v7 :: v_dual_add_nc_u32 v7, -1, v4
	v_add_nc_u32_e32 v3, v3, v6
	s_delay_alu instid0(VALU_DEP_2) | instskip(SKIP_3) | instid1(VALU_DEP_2)
	v_cmp_gt_i32_e32 vcc_lo, 0, v7
	ds_swizzle_b32 v6, v3 offset:swizzle(BROADCAST,32,15)
	v_cndmask_b32_e32 v4, v7, v4, vcc_lo
	v_cmp_eq_u32_e32 vcc_lo, 0, v0
	v_lshlrev_b32_e32 v4, 2, v4
	s_waitcnt lgkmcnt(0)
	v_and_b32_e32 v6, v8, v6
	s_delay_alu instid0(VALU_DEP_1) | instskip(SKIP_3) | instid1(VALU_DEP_1)
	v_add_nc_u32_e32 v3, v3, v6
	ds_bpermute_b32 v3, v4, v3
	s_waitcnt lgkmcnt(0)
	v_add_nc_u32_e32 v2, v3, v2
	v_cndmask_b32_e32 v10, v2, v1, vcc_lo
	ds_store_b32 v14, v10
	; wave barrier
	ds_load_2addr_b32 v[1:2], v14 offset0:1 offset1:2
	ds_load_2addr_b32 v[3:4], v14 offset0:3 offset1:4
	;; [unrolled: 1-line block ×4, first 2 shown]
	s_waitcnt lgkmcnt(3)
	v_add_nc_u32_e32 v10, v1, v10
	s_delay_alu instid0(VALU_DEP_1) | instskip(SKIP_3) | instid1(VALU_DEP_1)
	v_add_nc_u32_e32 v11, v2, v10
	ds_load_2addr_b32 v[1:2], v14 offset0:9 offset1:10
	s_waitcnt lgkmcnt(3)
	v_add_nc_u32_e32 v12, v3, v11
	v_add_nc_u32_e32 v13, v4, v12
	ds_load_2addr_b32 v[3:4], v14 offset0:11 offset1:12
	s_waitcnt lgkmcnt(3)
	v_add_nc_u32_e32 v15, v6, v13
	s_delay_alu instid0(VALU_DEP_1) | instskip(SKIP_1) | instid1(VALU_DEP_1)
	v_add_nc_u32_e32 v16, v7, v15
	s_waitcnt lgkmcnt(2)
	v_add_nc_u32_e32 v17, v8, v16
	s_delay_alu instid0(VALU_DEP_1) | instskip(SKIP_4) | instid1(VALU_DEP_1)
	v_add_nc_u32_e32 v18, v9, v17
	ds_load_2addr_b32 v[6:7], v14 offset0:13 offset1:14
	ds_load_2addr_b32 v[8:9], v14 offset0:15 offset1:16
	s_waitcnt lgkmcnt(3)
	v_add_nc_u32_e32 v19, v1, v18
	v_add_nc_u32_e32 v20, v2, v19
	ds_load_2addr_b32 v[1:2], v14 offset0:17 offset1:18
	s_waitcnt lgkmcnt(3)
	v_add_nc_u32_e32 v21, v3, v20
	s_delay_alu instid0(VALU_DEP_1) | instskip(SKIP_3) | instid1(VALU_DEP_1)
	v_add_nc_u32_e32 v22, v4, v21
	ds_load_2addr_b32 v[3:4], v14 offset0:19 offset1:20
	s_waitcnt lgkmcnt(3)
	v_add_nc_u32_e32 v23, v6, v22
	v_add_nc_u32_e32 v24, v7, v23
	s_waitcnt lgkmcnt(2)
	s_delay_alu instid0(VALU_DEP_1) | instskip(NEXT) | instid1(VALU_DEP_1)
	v_add_nc_u32_e32 v25, v8, v24
	v_add_nc_u32_e32 v26, v9, v25
	ds_load_2addr_b32 v[6:7], v14 offset0:21 offset1:22
	ds_load_2addr_b32 v[8:9], v14 offset0:23 offset1:24
	s_waitcnt lgkmcnt(3)
	v_add_nc_u32_e32 v27, v1, v26
	s_delay_alu instid0(VALU_DEP_1) | instskip(SKIP_3) | instid1(VALU_DEP_1)
	v_add_nc_u32_e32 v28, v2, v27
	ds_load_2addr_b32 v[1:2], v14 offset0:25 offset1:26
	s_waitcnt lgkmcnt(3)
	v_add_nc_u32_e32 v29, v3, v28
	v_add_nc_u32_e32 v30, v4, v29
	ds_load_2addr_b32 v[3:4], v14 offset0:27 offset1:28
	s_waitcnt lgkmcnt(3)
	v_add_nc_u32_e32 v31, v6, v30
	s_delay_alu instid0(VALU_DEP_1)
	v_add_nc_u32_e32 v32, v7, v31
	ds_load_2addr_b32 v[6:7], v14 offset0:29 offset1:30
	ds_load_b32 v33, v14 offset:124
	ds_store_2addr_b32 v14, v10, v11 offset0:1 offset1:2
	ds_store_2addr_b32 v14, v12, v13 offset0:3 offset1:4
	;; [unrolled: 1-line block ×8, first 2 shown]
	s_waitcnt lgkmcnt(12)
	v_add_nc_u32_e32 v8, v8, v32
	s_delay_alu instid0(VALU_DEP_1) | instskip(SKIP_1) | instid1(VALU_DEP_1)
	v_add_nc_u32_e32 v9, v9, v8
	s_waitcnt lgkmcnt(11)
	v_add_nc_u32_e32 v1, v1, v9
	s_delay_alu instid0(VALU_DEP_1) | instskip(SKIP_1) | instid1(VALU_DEP_1)
	v_add_nc_u32_e32 v2, v2, v1
	;; [unrolled: 4-line block ×4, first 2 shown]
	s_waitcnt lgkmcnt(8)
	v_add_nc_u32_e32 v10, v33, v7
	ds_store_2addr_b32 v14, v27, v28 offset0:17 offset1:18
	ds_store_2addr_b32 v14, v29, v30 offset0:19 offset1:20
	;; [unrolled: 1-line block ×7, first 2 shown]
	ds_store_b32 v14, v10 offset:124
.LBB1_43:
	s_or_b32 exec_lo, exec_lo, s0
	v_mov_b32_e32 v1, 0
	s_mov_b32 s0, exec_lo
	s_waitcnt lgkmcnt(0)
	s_barrier
	buffer_gl0_inv
	v_cmpx_ne_u32_e32 0, v0
	s_cbranch_execnz .LBB1_55
; %bb.44:
	s_or_b32 exec_lo, exec_lo, s0
	s_delay_alu instid0(SALU_CYCLE_1)
	s_mov_b32 s0, exec_lo
	v_cmpx_ge_i32_e64 s4, v0
	s_cbranch_execnz .LBB1_56
.LBB1_45:
	s_or_b32 exec_lo, exec_lo, s0
	s_delay_alu instid0(SALU_CYCLE_1)
	s_mov_b32 s0, exec_lo
	v_cmpx_eq_u32_e64 s4, v0
	s_cbranch_execz .LBB1_47
.LBB1_46:
	v_mov_b32_e32 v2, 0
	s_waitcnt lgkmcnt(0)
	global_store_b32 v2, v1, s[10:11]
.LBB1_47:
	s_or_b32 exec_lo, exec_lo, s0
	s_delay_alu instid0(SALU_CYCLE_1)
	s_mov_b32 s10, exec_lo
	s_waitcnt lgkmcnt(0)
	s_waitcnt_vscnt null, 0x0
	s_barrier
	buffer_gl0_inv
	v_cmpx_gt_u32_e64 s4, v0
	s_cbranch_execz .LBB1_51
; %bb.48:
	global_load_b64 v[1:2], v5, s[2:3]
	s_waitcnt vmcnt(0)
	v_cmp_lt_i32_e32 vcc_lo, v1, v2
	s_and_b32 exec_lo, exec_lo, vcc_lo
	s_cbranch_execz .LBB1_51
; %bb.49:
	s_mov_b32 s11, 0
	s_set_inst_prefetch_distance 0x1
	.p2align	6
.LBB1_50:                               ; =>This Inner Loop Header: Depth=1
	v_sub_nc_u32_e32 v3, 0, v1
	s_delay_alu instid0(VALU_DEP_1) | instskip(NEXT) | instid1(VALU_DEP_1)
	v_max_i32_e32 v3, v1, v3
	v_mul_hi_u32 v4, v3, s15
	s_delay_alu instid0(VALU_DEP_1) | instskip(NEXT) | instid1(VALU_DEP_1)
	v_mul_lo_u32 v5, v4, s14
	v_sub_nc_u32_e32 v3, v3, v5
	s_delay_alu instid0(VALU_DEP_1) | instskip(SKIP_1) | instid1(VALU_DEP_2)
	v_subrev_nc_u32_e32 v5, s14, v3
	v_cmp_le_u32_e32 vcc_lo, s14, v3
	v_dual_cndmask_b32 v3, v3, v5 :: v_dual_add_nc_u32 v6, 1, v4
	s_delay_alu instid0(VALU_DEP_1) | instskip(SKIP_2) | instid1(VALU_DEP_4)
	v_cndmask_b32_e32 v4, v4, v6, vcc_lo
	v_ashrrev_i32_e32 v6, 31, v1
	v_add_nc_u32_e32 v1, s7, v1
	v_cmp_le_u32_e32 vcc_lo, s14, v3
	s_delay_alu instid0(VALU_DEP_4) | instskip(NEXT) | instid1(VALU_DEP_4)
	v_add_nc_u32_e32 v5, 1, v4
	v_xor_b32_e32 v6, s1, v6
	s_delay_alu instid0(VALU_DEP_2) | instskip(SKIP_1) | instid1(VALU_DEP_2)
	v_cndmask_b32_e32 v3, v4, v5, vcc_lo
	v_cmp_ge_i32_e32 vcc_lo, v1, v2
	v_xor_b32_e32 v3, v3, v6
	s_or_b32 s11, vcc_lo, s11
	s_delay_alu instid0(VALU_DEP_1) | instskip(NEXT) | instid1(VALU_DEP_1)
	v_sub_nc_u32_e32 v3, v3, v6
	v_ashrrev_i32_e32 v4, 31, v3
	s_delay_alu instid0(VALU_DEP_1) | instskip(NEXT) | instid1(VALU_DEP_1)
	v_lshlrev_b64 v[3:4], 2, v[3:4]
	v_add_co_u32 v3, s0, s8, v3
	s_delay_alu instid0(VALU_DEP_1)
	v_add_co_ci_u32_e64 v4, s0, s9, v4, s0
	global_store_b32 v[3:4], v0, off
	s_and_not1_b32 exec_lo, exec_lo, s11
	s_cbranch_execnz .LBB1_50
.LBB1_51:
	s_set_inst_prefetch_distance 0x2
	s_or_b32 exec_lo, exec_lo, s10
	s_mul_i32 s0, s5, s14
	s_xor_b32 s7, s12, s1
	s_sub_i32 s0, s16, s0
	s_add_i32 s10, s5, 1
	s_sub_i32 s11, s0, s14
	s_cmp_ge_u32 s0, s14
	v_mov_b32_e32 v2, 0
	s_cselect_b32 s5, s10, s5
	s_cselect_b32 s0, s11, s0
	s_add_i32 s10, s5, 1
	s_cmp_ge_u32 s0, s14
	s_cselect_b32 s0, s10, s5
	s_ashr_i32 s5, s4, 31
	s_xor_b32 s0, s0, s7
	s_lshl_b64 s[10:11], s[4:5], 2
	s_sub_i32 s4, s0, s7
	s_add_u32 s2, s2, s10
	s_addc_u32 s3, s3, s11
	global_load_b32 v1, v2, s[2:3]
	s_waitcnt vmcnt(0)
	v_readfirstlane_b32 s0, v1
	v_ashrrev_i32_e32 v1, 31, v1
	s_delay_alu instid0(VALU_DEP_2) | instskip(NEXT) | instid1(VALU_DEP_1)
	s_abs_i32 s0, s0
	v_xor_b32_e32 v1, s1, v1
	s_mul_hi_u32 s2, s0, s15
	s_delay_alu instid0(SALU_CYCLE_1) | instskip(NEXT) | instid1(SALU_CYCLE_1)
	s_mul_i32 s3, s2, s14
	s_sub_i32 s0, s0, s3
	s_add_i32 s3, s2, 1
	s_sub_i32 s5, s0, s14
	s_cmp_ge_u32 s0, s14
	s_cselect_b32 s1, s3, s2
	s_cselect_b32 s0, s5, s0
	s_add_i32 s2, s1, 1
	s_cmp_ge_u32 s0, s14
	s_cselect_b32 s0, s2, s1
	s_delay_alu instid0(SALU_CYCLE_1) | instskip(SKIP_1) | instid1(VALU_DEP_1)
	v_xor_b32_e32 v3, s0, v1
	s_mov_b32 s0, exec_lo
	v_sub_nc_u32_e32 v1, v3, v1
	s_delay_alu instid0(VALU_DEP_1) | instskip(NEXT) | instid1(VALU_DEP_1)
	v_add_nc_u32_e32 v0, v1, v0
	v_cmpx_gt_i32_e64 s4, v0
	s_cbranch_execz .LBB1_54
; %bb.52:
	s_mov_b32 s1, 0
.LBB1_53:                               ; =>This Inner Loop Header: Depth=1
	v_ashrrev_i32_e32 v1, 31, v0
	s_delay_alu instid0(VALU_DEP_1) | instskip(SKIP_1) | instid1(VALU_DEP_1)
	v_lshlrev_b64 v[3:4], 2, v[0:1]
	v_add_nc_u32_e32 v0, s6, v0
	v_cmp_le_i32_e32 vcc_lo, s4, v0
	s_delay_alu instid0(VALU_DEP_3) | instskip(NEXT) | instid1(VALU_DEP_1)
	v_add_co_u32 v3, s0, s8, v3
	v_add_co_ci_u32_e64 v4, s0, s9, v4, s0
	s_or_b32 s1, vcc_lo, s1
	global_store_b32 v[3:4], v2, off
	s_and_not1_b32 exec_lo, exec_lo, s1
	s_cbranch_execnz .LBB1_53
.LBB1_54:
	s_nop 0
	s_sendmsg sendmsg(MSG_DEALLOC_VGPRS)
	s_endpgm
.LBB1_55:
	v_add_nc_u32_e32 v1, -1, v0
	s_delay_alu instid0(VALU_DEP_1) | instskip(NEXT) | instid1(VALU_DEP_1)
	v_lshrrev_b32_e32 v2, 5, v1
	v_add_lshl_u32 v1, v2, v1, 2
	ds_load_b32 v1, v1
	s_or_b32 exec_lo, exec_lo, s0
	s_delay_alu instid0(SALU_CYCLE_1)
	s_mov_b32 s0, exec_lo
	v_cmpx_ge_i32_e64 s4, v0
	s_cbranch_execz .LBB1_45
.LBB1_56:
	s_waitcnt lgkmcnt(0)
	global_store_b32 v5, v1, s[2:3]
	s_or_b32 exec_lo, exec_lo, s0
	s_delay_alu instid0(SALU_CYCLE_1)
	s_mov_b32 s0, exec_lo
	v_cmpx_eq_u32_e64 s4, v0
	s_cbranch_execnz .LBB1_46
	s_branch .LBB1_47
	.section	.rodata,"a",@progbits
	.p2align	6, 0x0
	.amdhsa_kernel _Z27moe_align_block_size_kernelIiEvPKT_PiS3_S3_S3_iiiiiS3_ii
		.amdhsa_group_segment_fixed_size 4224
		.amdhsa_private_segment_fixed_size 0
		.amdhsa_kernarg_size 336
		.amdhsa_user_sgpr_count 15
		.amdhsa_user_sgpr_dispatch_ptr 0
		.amdhsa_user_sgpr_queue_ptr 0
		.amdhsa_user_sgpr_kernarg_segment_ptr 1
		.amdhsa_user_sgpr_dispatch_id 0
		.amdhsa_user_sgpr_private_segment_size 0
		.amdhsa_wavefront_size32 1
		.amdhsa_uses_dynamic_stack 0
		.amdhsa_enable_private_segment 0
		.amdhsa_system_sgpr_workgroup_id_x 1
		.amdhsa_system_sgpr_workgroup_id_y 0
		.amdhsa_system_sgpr_workgroup_id_z 0
		.amdhsa_system_sgpr_workgroup_info 0
		.amdhsa_system_vgpr_workitem_id 0
		.amdhsa_next_free_vgpr 34
		.amdhsa_next_free_sgpr 26
		.amdhsa_reserve_vcc 1
		.amdhsa_float_round_mode_32 0
		.amdhsa_float_round_mode_16_64 0
		.amdhsa_float_denorm_mode_32 3
		.amdhsa_float_denorm_mode_16_64 3
		.amdhsa_dx10_clamp 1
		.amdhsa_ieee_mode 1
		.amdhsa_fp16_overflow 0
		.amdhsa_workgroup_processor_mode 1
		.amdhsa_memory_ordered 1
		.amdhsa_forward_progress 0
		.amdhsa_shared_vgpr_count 0
		.amdhsa_exception_fp_ieee_invalid_op 0
		.amdhsa_exception_fp_denorm_src 0
		.amdhsa_exception_fp_ieee_div_zero 0
		.amdhsa_exception_fp_ieee_overflow 0
		.amdhsa_exception_fp_ieee_underflow 0
		.amdhsa_exception_fp_ieee_inexact 0
		.amdhsa_exception_int_div_zero 0
	.end_amdhsa_kernel
	.section	.text._Z27moe_align_block_size_kernelIiEvPKT_PiS3_S3_S3_iiiiiS3_ii,"axG",@progbits,_Z27moe_align_block_size_kernelIiEvPKT_PiS3_S3_S3_iiiiiS3_ii,comdat
.Lfunc_end1:
	.size	_Z27moe_align_block_size_kernelIiEvPKT_PiS3_S3_S3_iiiiiS3_ii, .Lfunc_end1-_Z27moe_align_block_size_kernelIiEvPKT_PiS3_S3_S3_iiiiiS3_ii
                                        ; -- End function
	.section	.AMDGPU.csdata,"",@progbits
; Kernel info:
; codeLenInByte = 3068
; NumSgprs: 28
; NumVgprs: 34
; ScratchSize: 0
; MemoryBound: 0
; FloatMode: 240
; IeeeMode: 1
; LDSByteSize: 4224 bytes/workgroup (compile time only)
; SGPRBlocks: 3
; VGPRBlocks: 4
; NumSGPRsForWavesPerEU: 28
; NumVGPRsForWavesPerEU: 34
; Occupancy: 16
; WaveLimiterHint : 1
; COMPUTE_PGM_RSRC2:SCRATCH_EN: 0
; COMPUTE_PGM_RSRC2:USER_SGPR: 15
; COMPUTE_PGM_RSRC2:TRAP_HANDLER: 0
; COMPUTE_PGM_RSRC2:TGID_X_EN: 1
; COMPUTE_PGM_RSRC2:TGID_Y_EN: 0
; COMPUTE_PGM_RSRC2:TGID_Z_EN: 0
; COMPUTE_PGM_RSRC2:TIDIG_COMP_CNT: 0
	.section	.text._Z35count_and_sort_expert_tokens_kernelIiEvPKT_PiS3_S3_iiii,"axG",@progbits,_Z35count_and_sort_expert_tokens_kernelIiEvPKT_PiS3_S3_iiii,comdat
	.protected	_Z35count_and_sort_expert_tokens_kernelIiEvPKT_PiS3_S3_iiii ; -- Begin function _Z35count_and_sort_expert_tokens_kernelIiEvPKT_PiS3_S3_iiii
	.globl	_Z35count_and_sort_expert_tokens_kernelIiEvPKT_PiS3_S3_iiii
	.p2align	8
	.type	_Z35count_and_sort_expert_tokens_kernelIiEvPKT_PiS3_S3_iiii,@function
_Z35count_and_sort_expert_tokens_kernelIiEvPKT_PiS3_S3_iiii: ; @_Z35count_and_sort_expert_tokens_kernelIiEvPKT_PiS3_S3_iiii
; %bb.0:
	s_clause 0x1
	s_load_b32 s2, s[0:1], 0x3c
	s_load_b64 s[8:9], s[0:1], 0x20
	s_add_u32 s10, s0, 48
	s_addc_u32 s11, s1, 0
	s_waitcnt lgkmcnt(0)
	s_and_b32 s12, s2, 0xffff
	s_mov_b32 s2, exec_lo
	v_mad_u64_u32 v[1:2], null, s15, s12, v[0:1]
	s_delay_alu instid0(VALU_DEP_1)
	v_cmpx_gt_i32_e64 s8, v1
	s_cbranch_execz .LBB2_8
; %bb.1:
	s_load_b256 s[0:7], s[0:1], 0x0
	s_load_b32 s10, s[10:11], 0x4
	v_ashrrev_i32_e32 v2, 31, v1
	v_mov_b32_e32 v0, 1
	s_delay_alu instid0(VALU_DEP_2) | instskip(SKIP_2) | instid1(VALU_DEP_1)
	v_lshlrev_b64 v[2:3], 2, v[1:2]
	s_waitcnt lgkmcnt(0)
	s_cmp_eq_u64 s[6:7], 0
	v_add_co_u32 v2, vcc_lo, s0, v2
	s_mul_i32 s10, s10, s12
	s_cselect_b32 s14, -1, 0
	s_cmp_lg_u64 s[6:7], 0
	v_add_co_ci_u32_e32 v3, vcc_lo, s1, v3, vcc_lo
	s_cselect_b32 s1, -1, 0
	s_ashr_i32 s11, s10, 31
	s_delay_alu instid0(SALU_CYCLE_1)
	s_lshl_b64 s[12:13], s[10:11], 2
	s_mov_b32 s11, 0
	s_branch .LBB2_3
.LBB2_2:                                ;   in Loop: Header=BB2_3 Depth=1
	s_or_b32 exec_lo, exec_lo, s0
	v_add_nc_u32_e32 v1, s10, v1
	v_add_co_u32 v2, s0, v2, s12
	s_delay_alu instid0(VALU_DEP_1) | instskip(NEXT) | instid1(VALU_DEP_3)
	v_add_co_ci_u32_e64 v3, s0, s13, v3, s0
	v_cmp_le_i32_e32 vcc_lo, s8, v1
	s_or_b32 s11, vcc_lo, s11
	s_delay_alu instid0(SALU_CYCLE_1)
	s_and_not1_b32 exec_lo, exec_lo, s11
	s_cbranch_execz .LBB2_8
.LBB2_3:                                ; =>This Inner Loop Header: Depth=1
	global_load_b32 v4, v[2:3], off
	s_mov_b32 s0, exec_lo
	s_waitcnt vmcnt(0)
	v_cmpx_gt_i32_e64 s9, v4
	s_cbranch_execz .LBB2_2
; %bb.4:                                ;   in Loop: Header=BB2_3 Depth=1
	s_and_not1_b32 vcc_lo, exec_lo, s1
	s_cbranch_vccnz .LBB2_6
; %bb.5:                                ;   in Loop: Header=BB2_3 Depth=1
	v_ashrrev_i32_e32 v5, 31, v4
	s_and_not1_b32 s15, s14, exec_lo
	s_delay_alu instid0(VALU_DEP_1) | instskip(NEXT) | instid1(VALU_DEP_1)
	v_lshlrev_b64 v[4:5], 2, v[4:5]
	v_add_co_u32 v4, vcc_lo, s6, v4
	s_delay_alu instid0(VALU_DEP_2) | instskip(SKIP_4) | instid1(SALU_CYCLE_1)
	v_add_co_ci_u32_e32 v5, vcc_lo, s7, v5, vcc_lo
	global_load_b32 v4, v[4:5], off
	s_waitcnt vmcnt(0)
	v_cmp_ne_u32_e32 vcc_lo, -1, v4
	s_and_b32 s16, vcc_lo, exec_lo
	s_or_b32 s15, s15, s16
	s_delay_alu instid0(SALU_CYCLE_1)
	s_and_b32 exec_lo, exec_lo, s15
	s_cbranch_execz .LBB2_2
	s_branch .LBB2_7
.LBB2_6:                                ;   in Loop: Header=BB2_3 Depth=1
	s_mov_b32 s15, s14
	s_delay_alu instid0(SALU_CYCLE_1)
	s_and_b32 exec_lo, exec_lo, s15
	s_cbranch_execz .LBB2_2
.LBB2_7:                                ;   in Loop: Header=BB2_3 Depth=1
	v_ashrrev_i32_e32 v5, 31, v4
	s_delay_alu instid0(VALU_DEP_1) | instskip(NEXT) | instid1(VALU_DEP_1)
	v_lshlrev_b64 v[4:5], 2, v[4:5]
	v_add_co_u32 v4, vcc_lo, s4, v4
	s_delay_alu instid0(VALU_DEP_2) | instskip(SKIP_3) | instid1(VALU_DEP_1)
	v_add_co_ci_u32_e32 v5, vcc_lo, s5, v5, vcc_lo
	global_atomic_add_u32 v4, v[4:5], v0, off glc
	s_waitcnt vmcnt(0)
	v_ashrrev_i32_e32 v5, 31, v4
	v_lshlrev_b64 v[4:5], 2, v[4:5]
	s_delay_alu instid0(VALU_DEP_1) | instskip(NEXT) | instid1(VALU_DEP_2)
	v_add_co_u32 v4, vcc_lo, s2, v4
	v_add_co_ci_u32_e32 v5, vcc_lo, s3, v5, vcc_lo
	global_store_b32 v[4:5], v1, off
	s_branch .LBB2_2
.LBB2_8:
	s_nop 0
	s_sendmsg sendmsg(MSG_DEALLOC_VGPRS)
	s_endpgm
	.section	.rodata,"a",@progbits
	.p2align	6, 0x0
	.amdhsa_kernel _Z35count_and_sort_expert_tokens_kernelIiEvPKT_PiS3_S3_iiii
		.amdhsa_group_segment_fixed_size 0
		.amdhsa_private_segment_fixed_size 0
		.amdhsa_kernarg_size 304
		.amdhsa_user_sgpr_count 14
		.amdhsa_user_sgpr_dispatch_ptr 0
		.amdhsa_user_sgpr_queue_ptr 0
		.amdhsa_user_sgpr_kernarg_segment_ptr 1
		.amdhsa_user_sgpr_dispatch_id 0
		.amdhsa_user_sgpr_private_segment_size 0
		.amdhsa_wavefront_size32 1
		.amdhsa_uses_dynamic_stack 0
		.amdhsa_enable_private_segment 0
		.amdhsa_system_sgpr_workgroup_id_x 1
		.amdhsa_system_sgpr_workgroup_id_y 1
		.amdhsa_system_sgpr_workgroup_id_z 0
		.amdhsa_system_sgpr_workgroup_info 0
		.amdhsa_system_vgpr_workitem_id 0
		.amdhsa_next_free_vgpr 6
		.amdhsa_next_free_sgpr 17
		.amdhsa_reserve_vcc 1
		.amdhsa_float_round_mode_32 0
		.amdhsa_float_round_mode_16_64 0
		.amdhsa_float_denorm_mode_32 3
		.amdhsa_float_denorm_mode_16_64 3
		.amdhsa_dx10_clamp 1
		.amdhsa_ieee_mode 1
		.amdhsa_fp16_overflow 0
		.amdhsa_workgroup_processor_mode 1
		.amdhsa_memory_ordered 1
		.amdhsa_forward_progress 0
		.amdhsa_shared_vgpr_count 0
		.amdhsa_exception_fp_ieee_invalid_op 0
		.amdhsa_exception_fp_denorm_src 0
		.amdhsa_exception_fp_ieee_div_zero 0
		.amdhsa_exception_fp_ieee_overflow 0
		.amdhsa_exception_fp_ieee_underflow 0
		.amdhsa_exception_fp_ieee_inexact 0
		.amdhsa_exception_int_div_zero 0
	.end_amdhsa_kernel
	.section	.text._Z35count_and_sort_expert_tokens_kernelIiEvPKT_PiS3_S3_iiii,"axG",@progbits,_Z35count_and_sort_expert_tokens_kernelIiEvPKT_PiS3_S3_iiii,comdat
.Lfunc_end2:
	.size	_Z35count_and_sort_expert_tokens_kernelIiEvPKT_PiS3_S3_iiii, .Lfunc_end2-_Z35count_and_sort_expert_tokens_kernelIiEvPKT_PiS3_S3_iiii
                                        ; -- End function
	.section	.AMDGPU.csdata,"",@progbits
; Kernel info:
; codeLenInByte = 432
; NumSgprs: 19
; NumVgprs: 6
; ScratchSize: 0
; MemoryBound: 0
; FloatMode: 240
; IeeeMode: 1
; LDSByteSize: 0 bytes/workgroup (compile time only)
; SGPRBlocks: 2
; VGPRBlocks: 0
; NumSGPRsForWavesPerEU: 19
; NumVGPRsForWavesPerEU: 6
; Occupancy: 16
; WaveLimiterHint : 1
; COMPUTE_PGM_RSRC2:SCRATCH_EN: 0
; COMPUTE_PGM_RSRC2:USER_SGPR: 14
; COMPUTE_PGM_RSRC2:TRAP_HANDLER: 0
; COMPUTE_PGM_RSRC2:TGID_X_EN: 1
; COMPUTE_PGM_RSRC2:TGID_Y_EN: 1
; COMPUTE_PGM_RSRC2:TGID_Z_EN: 0
; COMPUTE_PGM_RSRC2:TIDIG_COMP_CNT: 0
	.text
	.p2alignl 7, 3214868480
	.fill 96, 4, 3214868480
	.type	__hip_cuid_b0708144b21faa7b,@object ; @__hip_cuid_b0708144b21faa7b
	.section	.bss,"aw",@nobits
	.globl	__hip_cuid_b0708144b21faa7b
__hip_cuid_b0708144b21faa7b:
	.byte	0                               ; 0x0
	.size	__hip_cuid_b0708144b21faa7b, 1

	.ident	"AMD clang version 19.0.0git (https://github.com/RadeonOpenCompute/llvm-project roc-6.4.0 25133 c7fe45cf4b819c5991fe208aaa96edf142730f1d)"
	.section	".note.GNU-stack","",@progbits
	.addrsig
	.addrsig_sym shared_counts
	.addrsig_sym __hip_cuid_b0708144b21faa7b
	.amdgpu_metadata
---
amdhsa.kernels:
  - .args:
      - .actual_access:  read_only
        .address_space:  global
        .offset:         0
        .size:           8
        .value_kind:     global_buffer
      - .actual_access:  write_only
        .address_space:  global
        .offset:         8
        .size:           8
        .value_kind:     global_buffer
      - .actual_access:  write_only
        .address_space:  global
        .offset:         16
        .size:           8
        .value_kind:     global_buffer
      - .actual_access:  write_only
        .address_space:  global
        .offset:         24
        .size:           8
        .value_kind:     global_buffer
      - .actual_access:  read_only
        .address_space:  global
        .offset:         32
        .size:           8
        .value_kind:     global_buffer
      - .offset:         40
        .size:           4
        .value_kind:     by_value
      - .offset:         44
        .size:           4
        .value_kind:     by_value
      - .offset:         48
        .size:           4
        .value_kind:     by_value
      - .offset:         52
        .size:           4
        .value_kind:     by_value
      - .offset:         56
        .size:           4
        .value_kind:     by_value
      - .offset:         64
        .size:           4
        .value_kind:     hidden_block_count_x
      - .offset:         68
        .size:           4
        .value_kind:     hidden_block_count_y
      - .offset:         72
        .size:           4
        .value_kind:     hidden_block_count_z
      - .offset:         76
        .size:           2
        .value_kind:     hidden_group_size_x
      - .offset:         78
        .size:           2
        .value_kind:     hidden_group_size_y
      - .offset:         80
        .size:           2
        .value_kind:     hidden_group_size_z
      - .offset:         82
        .size:           2
        .value_kind:     hidden_remainder_x
      - .offset:         84
        .size:           2
        .value_kind:     hidden_remainder_y
      - .offset:         86
        .size:           2
        .value_kind:     hidden_remainder_z
      - .offset:         104
        .size:           8
        .value_kind:     hidden_global_offset_x
      - .offset:         112
        .size:           8
        .value_kind:     hidden_global_offset_y
      - .offset:         120
        .size:           8
        .value_kind:     hidden_global_offset_z
      - .offset:         128
        .size:           2
        .value_kind:     hidden_grid_dims
      - .offset:         184
        .size:           4
        .value_kind:     hidden_dynamic_lds_size
    .group_segment_fixed_size: 0
    .kernarg_segment_align: 8
    .kernarg_segment_size: 320
    .language:       OpenCL C
    .language_version:
      - 2
      - 0
    .max_flat_workgroup_size: 1024
    .name:           _Z46moe_align_block_size_small_batch_expert_kernelIiLi256EEvPKT_PiS3_S3_S3_iiiii
    .private_segment_fixed_size: 0
    .sgpr_count:     40
    .sgpr_spill_count: 0
    .symbol:         _Z46moe_align_block_size_small_batch_expert_kernelIiLi256EEvPKT_PiS3_S3_S3_iiiii.kd
    .uniform_work_group_size: 1
    .uses_dynamic_stack: false
    .vgpr_count:     8
    .vgpr_spill_count: 0
    .wavefront_size: 32
    .workgroup_processor_mode: 1
  - .args:
      - .actual_access:  read_only
        .address_space:  global
        .offset:         0
        .size:           8
        .value_kind:     global_buffer
      - .actual_access:  write_only
        .address_space:  global
        .offset:         8
        .size:           8
        .value_kind:     global_buffer
      - .actual_access:  write_only
        .address_space:  global
        .offset:         16
        .size:           8
        .value_kind:     global_buffer
      - .actual_access:  write_only
        .address_space:  global
        .offset:         24
        .size:           8
        .value_kind:     global_buffer
      - .actual_access:  read_only
        .address_space:  global
        .offset:         32
        .size:           8
        .value_kind:     global_buffer
      - .offset:         40
        .size:           4
        .value_kind:     by_value
      - .offset:         44
        .size:           4
        .value_kind:     by_value
      - .offset:         48
        .size:           4
        .value_kind:     by_value
      - .offset:         52
        .size:           4
        .value_kind:     by_value
      - .offset:         56
        .size:           4
        .value_kind:     by_value
      - .address_space:  global
        .offset:         64
        .size:           8
        .value_kind:     global_buffer
      - .offset:         72
        .size:           4
        .value_kind:     by_value
      - .offset:         76
        .size:           4
        .value_kind:     by_value
      - .offset:         80
        .size:           4
        .value_kind:     hidden_block_count_x
      - .offset:         84
        .size:           4
        .value_kind:     hidden_block_count_y
      - .offset:         88
        .size:           4
        .value_kind:     hidden_block_count_z
      - .offset:         92
        .size:           2
        .value_kind:     hidden_group_size_x
      - .offset:         94
        .size:           2
        .value_kind:     hidden_group_size_y
      - .offset:         96
        .size:           2
        .value_kind:     hidden_group_size_z
      - .offset:         98
        .size:           2
        .value_kind:     hidden_remainder_x
      - .offset:         100
        .size:           2
        .value_kind:     hidden_remainder_y
      - .offset:         102
        .size:           2
        .value_kind:     hidden_remainder_z
      - .offset:         120
        .size:           8
        .value_kind:     hidden_global_offset_x
      - .offset:         128
        .size:           8
        .value_kind:     hidden_global_offset_y
      - .offset:         136
        .size:           8
        .value_kind:     hidden_global_offset_z
      - .offset:         144
        .size:           2
        .value_kind:     hidden_grid_dims
      - .offset:         200
        .size:           4
        .value_kind:     hidden_dynamic_lds_size
    .group_segment_fixed_size: 4224
    .kernarg_segment_align: 8
    .kernarg_segment_size: 336
    .language:       OpenCL C
    .language_version:
      - 2
      - 0
    .max_flat_workgroup_size: 1024
    .name:           _Z27moe_align_block_size_kernelIiEvPKT_PiS3_S3_S3_iiiiiS3_ii
    .private_segment_fixed_size: 0
    .sgpr_count:     28
    .sgpr_spill_count: 0
    .symbol:         _Z27moe_align_block_size_kernelIiEvPKT_PiS3_S3_S3_iiiiiS3_ii.kd
    .uniform_work_group_size: 1
    .uses_dynamic_stack: false
    .vgpr_count:     34
    .vgpr_spill_count: 0
    .wavefront_size: 32
    .workgroup_processor_mode: 1
  - .args:
      - .actual_access:  read_only
        .address_space:  global
        .offset:         0
        .size:           8
        .value_kind:     global_buffer
      - .actual_access:  write_only
        .address_space:  global
        .offset:         8
        .size:           8
        .value_kind:     global_buffer
      - .address_space:  global
        .offset:         16
        .size:           8
        .value_kind:     global_buffer
      - .actual_access:  read_only
        .address_space:  global
        .offset:         24
        .size:           8
        .value_kind:     global_buffer
      - .offset:         32
        .size:           4
        .value_kind:     by_value
      - .offset:         36
        .size:           4
        .value_kind:     by_value
      - .offset:         40
        .size:           4
        .value_kind:     by_value
      - .offset:         44
        .size:           4
        .value_kind:     by_value
      - .offset:         48
        .size:           4
        .value_kind:     hidden_block_count_x
      - .offset:         52
        .size:           4
        .value_kind:     hidden_block_count_y
      - .offset:         56
        .size:           4
        .value_kind:     hidden_block_count_z
      - .offset:         60
        .size:           2
        .value_kind:     hidden_group_size_x
      - .offset:         62
        .size:           2
        .value_kind:     hidden_group_size_y
      - .offset:         64
        .size:           2
        .value_kind:     hidden_group_size_z
      - .offset:         66
        .size:           2
        .value_kind:     hidden_remainder_x
      - .offset:         68
        .size:           2
        .value_kind:     hidden_remainder_y
      - .offset:         70
        .size:           2
        .value_kind:     hidden_remainder_z
      - .offset:         88
        .size:           8
        .value_kind:     hidden_global_offset_x
      - .offset:         96
        .size:           8
        .value_kind:     hidden_global_offset_y
      - .offset:         104
        .size:           8
        .value_kind:     hidden_global_offset_z
      - .offset:         112
        .size:           2
        .value_kind:     hidden_grid_dims
    .group_segment_fixed_size: 0
    .kernarg_segment_align: 8
    .kernarg_segment_size: 304
    .language:       OpenCL C
    .language_version:
      - 2
      - 0
    .max_flat_workgroup_size: 1024
    .name:           _Z35count_and_sort_expert_tokens_kernelIiEvPKT_PiS3_S3_iiii
    .private_segment_fixed_size: 0
    .sgpr_count:     19
    .sgpr_spill_count: 0
    .symbol:         _Z35count_and_sort_expert_tokens_kernelIiEvPKT_PiS3_S3_iiii.kd
    .uniform_work_group_size: 1
    .uses_dynamic_stack: false
    .vgpr_count:     6
    .vgpr_spill_count: 0
    .wavefront_size: 32
    .workgroup_processor_mode: 1
amdhsa.target:   amdgcn-amd-amdhsa--gfx1100
amdhsa.version:
  - 1
  - 2
...

	.end_amdgpu_metadata
